;; amdgpu-corpus repo=ROCm/rocFFT kind=compiled arch=gfx906 opt=O3
	.text
	.amdgcn_target "amdgcn-amd-amdhsa--gfx906"
	.amdhsa_code_object_version 6
	.protected	fft_rtc_fwd_len1176_factors_2_2_2_3_7_7_wgs_56_tpt_56_halfLds_sp_op_CI_CI_unitstride_sbrr_dirReg ; -- Begin function fft_rtc_fwd_len1176_factors_2_2_2_3_7_7_wgs_56_tpt_56_halfLds_sp_op_CI_CI_unitstride_sbrr_dirReg
	.globl	fft_rtc_fwd_len1176_factors_2_2_2_3_7_7_wgs_56_tpt_56_halfLds_sp_op_CI_CI_unitstride_sbrr_dirReg
	.p2align	8
	.type	fft_rtc_fwd_len1176_factors_2_2_2_3_7_7_wgs_56_tpt_56_halfLds_sp_op_CI_CI_unitstride_sbrr_dirReg,@function
fft_rtc_fwd_len1176_factors_2_2_2_3_7_7_wgs_56_tpt_56_halfLds_sp_op_CI_CI_unitstride_sbrr_dirReg: ; @fft_rtc_fwd_len1176_factors_2_2_2_3_7_7_wgs_56_tpt_56_halfLds_sp_op_CI_CI_unitstride_sbrr_dirReg
; %bb.0:
	s_load_dwordx4 s[8:11], s[4:5], 0x58
	s_load_dwordx4 s[12:15], s[4:5], 0x0
	;; [unrolled: 1-line block ×3, first 2 shown]
	v_mul_u32_u24_e32 v1, 0x493, v0
	v_mov_b32_e32 v7, 0
	v_mov_b32_e32 v5, 0
	s_waitcnt lgkmcnt(0)
	v_cmp_lt_u64_e64 s[0:1], s[14:15], 2
	v_add_u32_sdwa v9, s6, v1 dst_sel:DWORD dst_unused:UNUSED_PAD src0_sel:DWORD src1_sel:WORD_1
	v_mov_b32_e32 v10, v7
	s_and_b64 vcc, exec, s[0:1]
	v_mov_b32_e32 v6, 0
	s_cbranch_vccnz .LBB0_8
; %bb.1:
	s_load_dwordx2 s[0:1], s[4:5], 0x10
	s_add_u32 s2, s18, 8
	s_addc_u32 s3, s19, 0
	s_add_u32 s6, s16, 8
	s_addc_u32 s7, s17, 0
	v_mov_b32_e32 v5, 0
	s_waitcnt lgkmcnt(0)
	s_add_u32 s20, s0, 8
	v_mov_b32_e32 v6, 0
	v_mov_b32_e32 v1, v5
	s_addc_u32 s21, s1, 0
	s_mov_b64 s[22:23], 1
	v_mov_b32_e32 v2, v6
.LBB0_2:                                ; =>This Inner Loop Header: Depth=1
	s_load_dwordx2 s[24:25], s[20:21], 0x0
                                        ; implicit-def: $vgpr3_vgpr4
	s_waitcnt lgkmcnt(0)
	v_or_b32_e32 v8, s25, v10
	v_cmp_ne_u64_e32 vcc, 0, v[7:8]
	s_and_saveexec_b64 s[0:1], vcc
	s_xor_b64 s[26:27], exec, s[0:1]
	s_cbranch_execz .LBB0_4
; %bb.3:                                ;   in Loop: Header=BB0_2 Depth=1
	v_cvt_f32_u32_e32 v3, s24
	v_cvt_f32_u32_e32 v4, s25
	s_sub_u32 s0, 0, s24
	s_subb_u32 s1, 0, s25
	v_mac_f32_e32 v3, 0x4f800000, v4
	v_rcp_f32_e32 v3, v3
	v_mul_f32_e32 v3, 0x5f7ffffc, v3
	v_mul_f32_e32 v4, 0x2f800000, v3
	v_trunc_f32_e32 v4, v4
	v_mac_f32_e32 v3, 0xcf800000, v4
	v_cvt_u32_f32_e32 v4, v4
	v_cvt_u32_f32_e32 v3, v3
	v_mul_lo_u32 v8, s0, v4
	v_mul_hi_u32 v11, s0, v3
	v_mul_lo_u32 v13, s1, v3
	v_mul_lo_u32 v12, s0, v3
	v_add_u32_e32 v8, v11, v8
	v_add_u32_e32 v8, v8, v13
	v_mul_hi_u32 v11, v3, v12
	v_mul_lo_u32 v13, v3, v8
	v_mul_hi_u32 v15, v3, v8
	v_mul_hi_u32 v14, v4, v12
	v_mul_lo_u32 v12, v4, v12
	v_mul_hi_u32 v16, v4, v8
	v_add_co_u32_e32 v11, vcc, v11, v13
	v_addc_co_u32_e32 v13, vcc, 0, v15, vcc
	v_mul_lo_u32 v8, v4, v8
	v_add_co_u32_e32 v11, vcc, v11, v12
	v_addc_co_u32_e32 v11, vcc, v13, v14, vcc
	v_addc_co_u32_e32 v12, vcc, 0, v16, vcc
	v_add_co_u32_e32 v8, vcc, v11, v8
	v_addc_co_u32_e32 v11, vcc, 0, v12, vcc
	v_add_co_u32_e32 v3, vcc, v3, v8
	v_addc_co_u32_e32 v4, vcc, v4, v11, vcc
	v_mul_lo_u32 v8, s0, v4
	v_mul_hi_u32 v11, s0, v3
	v_mul_lo_u32 v12, s1, v3
	v_mul_lo_u32 v13, s0, v3
	v_add_u32_e32 v8, v11, v8
	v_add_u32_e32 v8, v8, v12
	v_mul_lo_u32 v14, v3, v8
	v_mul_hi_u32 v15, v3, v13
	v_mul_hi_u32 v16, v3, v8
	v_mul_hi_u32 v12, v4, v13
	v_mul_lo_u32 v13, v4, v13
	v_mul_hi_u32 v11, v4, v8
	v_add_co_u32_e32 v14, vcc, v15, v14
	v_addc_co_u32_e32 v15, vcc, 0, v16, vcc
	v_mul_lo_u32 v8, v4, v8
	v_add_co_u32_e32 v13, vcc, v14, v13
	v_addc_co_u32_e32 v12, vcc, v15, v12, vcc
	v_addc_co_u32_e32 v11, vcc, 0, v11, vcc
	v_add_co_u32_e32 v8, vcc, v12, v8
	v_addc_co_u32_e32 v11, vcc, 0, v11, vcc
	v_add_co_u32_e32 v8, vcc, v3, v8
	v_addc_co_u32_e32 v11, vcc, v4, v11, vcc
	v_mad_u64_u32 v[3:4], s[0:1], v9, v11, 0
	v_mul_hi_u32 v12, v9, v8
	v_add_co_u32_e32 v13, vcc, v12, v3
	v_addc_co_u32_e32 v14, vcc, 0, v4, vcc
	v_mad_u64_u32 v[3:4], s[0:1], v10, v8, 0
	v_mad_u64_u32 v[11:12], s[0:1], v10, v11, 0
	v_add_co_u32_e32 v3, vcc, v13, v3
	v_addc_co_u32_e32 v3, vcc, v14, v4, vcc
	v_addc_co_u32_e32 v4, vcc, 0, v12, vcc
	v_add_co_u32_e32 v8, vcc, v3, v11
	v_addc_co_u32_e32 v11, vcc, 0, v4, vcc
	v_mul_lo_u32 v12, s25, v8
	v_mul_lo_u32 v13, s24, v11
	v_mad_u64_u32 v[3:4], s[0:1], s24, v8, 0
	v_add3_u32 v4, v4, v13, v12
	v_sub_u32_e32 v12, v10, v4
	v_mov_b32_e32 v13, s25
	v_sub_co_u32_e32 v3, vcc, v9, v3
	v_subb_co_u32_e64 v12, s[0:1], v12, v13, vcc
	v_subrev_co_u32_e64 v13, s[0:1], s24, v3
	v_subbrev_co_u32_e64 v12, s[0:1], 0, v12, s[0:1]
	v_cmp_le_u32_e64 s[0:1], s25, v12
	v_cndmask_b32_e64 v14, 0, -1, s[0:1]
	v_cmp_le_u32_e64 s[0:1], s24, v13
	v_cndmask_b32_e64 v13, 0, -1, s[0:1]
	v_cmp_eq_u32_e64 s[0:1], s25, v12
	v_cndmask_b32_e64 v12, v14, v13, s[0:1]
	v_add_co_u32_e64 v13, s[0:1], 2, v8
	v_addc_co_u32_e64 v14, s[0:1], 0, v11, s[0:1]
	v_add_co_u32_e64 v15, s[0:1], 1, v8
	v_addc_co_u32_e64 v16, s[0:1], 0, v11, s[0:1]
	v_subb_co_u32_e32 v4, vcc, v10, v4, vcc
	v_cmp_ne_u32_e64 s[0:1], 0, v12
	v_cmp_le_u32_e32 vcc, s25, v4
	v_cndmask_b32_e64 v12, v16, v14, s[0:1]
	v_cndmask_b32_e64 v14, 0, -1, vcc
	v_cmp_le_u32_e32 vcc, s24, v3
	v_cndmask_b32_e64 v3, 0, -1, vcc
	v_cmp_eq_u32_e32 vcc, s25, v4
	v_cndmask_b32_e32 v3, v14, v3, vcc
	v_cmp_ne_u32_e32 vcc, 0, v3
	v_cndmask_b32_e64 v3, v15, v13, s[0:1]
	v_cndmask_b32_e32 v4, v11, v12, vcc
	v_cndmask_b32_e32 v3, v8, v3, vcc
.LBB0_4:                                ;   in Loop: Header=BB0_2 Depth=1
	s_andn2_saveexec_b64 s[0:1], s[26:27]
	s_cbranch_execz .LBB0_6
; %bb.5:                                ;   in Loop: Header=BB0_2 Depth=1
	v_cvt_f32_u32_e32 v3, s24
	s_sub_i32 s26, 0, s24
	v_rcp_iflag_f32_e32 v3, v3
	v_mul_f32_e32 v3, 0x4f7ffffe, v3
	v_cvt_u32_f32_e32 v3, v3
	v_mul_lo_u32 v4, s26, v3
	v_mul_hi_u32 v4, v3, v4
	v_add_u32_e32 v3, v3, v4
	v_mul_hi_u32 v3, v9, v3
	v_mul_lo_u32 v4, v3, s24
	v_add_u32_e32 v8, 1, v3
	v_sub_u32_e32 v4, v9, v4
	v_subrev_u32_e32 v11, s24, v4
	v_cmp_le_u32_e32 vcc, s24, v4
	v_cndmask_b32_e32 v4, v4, v11, vcc
	v_cndmask_b32_e32 v3, v3, v8, vcc
	v_add_u32_e32 v8, 1, v3
	v_cmp_le_u32_e32 vcc, s24, v4
	v_cndmask_b32_e32 v3, v3, v8, vcc
	v_mov_b32_e32 v4, v7
.LBB0_6:                                ;   in Loop: Header=BB0_2 Depth=1
	s_or_b64 exec, exec, s[0:1]
	v_mul_lo_u32 v8, v4, s24
	v_mul_lo_u32 v13, v3, s25
	v_mad_u64_u32 v[11:12], s[0:1], v3, s24, 0
	s_load_dwordx2 s[0:1], s[6:7], 0x0
	s_load_dwordx2 s[24:25], s[2:3], 0x0
	v_add3_u32 v8, v12, v13, v8
	v_sub_co_u32_e32 v9, vcc, v9, v11
	v_subb_co_u32_e32 v8, vcc, v10, v8, vcc
	s_waitcnt lgkmcnt(0)
	v_mul_lo_u32 v10, s0, v8
	v_mul_lo_u32 v11, s1, v9
	v_mad_u64_u32 v[5:6], s[0:1], s0, v9, v[5:6]
	v_mul_lo_u32 v8, s24, v8
	v_mul_lo_u32 v12, s25, v9
	v_mad_u64_u32 v[1:2], s[0:1], s24, v9, v[1:2]
	s_add_u32 s22, s22, 1
	s_addc_u32 s23, s23, 0
	s_add_u32 s2, s2, 8
	v_add3_u32 v2, v12, v2, v8
	s_addc_u32 s3, s3, 0
	v_mov_b32_e32 v8, s14
	s_add_u32 s6, s6, 8
	v_mov_b32_e32 v9, s15
	s_addc_u32 s7, s7, 0
	v_cmp_ge_u64_e32 vcc, s[22:23], v[8:9]
	s_add_u32 s20, s20, 8
	v_add3_u32 v6, v11, v6, v10
	s_addc_u32 s21, s21, 0
	s_cbranch_vccnz .LBB0_9
; %bb.7:                                ;   in Loop: Header=BB0_2 Depth=1
	v_mov_b32_e32 v10, v4
	v_mov_b32_e32 v9, v3
	s_branch .LBB0_2
.LBB0_8:
	v_mov_b32_e32 v1, v5
	v_mov_b32_e32 v3, v9
	;; [unrolled: 1-line block ×4, first 2 shown]
.LBB0_9:
	s_load_dwordx2 s[4:5], s[4:5], 0x28
	s_lshl_b64 s[6:7], s[14:15], 3
	s_add_u32 s2, s18, s6
	s_addc_u32 s3, s19, s7
                                        ; implicit-def: $sgpr14
                                        ; implicit-def: $vgpr68
                                        ; implicit-def: $vgpr81
	s_waitcnt lgkmcnt(0)
	v_cmp_gt_u64_e64 s[0:1], s[4:5], v[3:4]
	v_cmp_le_u64_e32 vcc, s[4:5], v[3:4]
	s_and_saveexec_b64 s[4:5], vcc
	s_xor_b64 s[4:5], exec, s[4:5]
; %bb.10:
	s_mov_b32 s14, 0x4924925
	v_mul_hi_u32 v5, v0, s14
	s_mov_b32 s14, 0
	v_mul_u32_u24_e32 v5, 56, v5
	v_sub_u32_e32 v68, v0, v5
	v_or_b32_e32 v81, 0x1c0, v68
                                        ; implicit-def: $vgpr0
                                        ; implicit-def: $vgpr5_vgpr6
; %bb.11:
	s_or_saveexec_b64 s[4:5], s[4:5]
	s_load_dwordx2 s[2:3], s[2:3], 0x0
	v_mov_b32_e32 v27, s14
	v_mov_b32_e32 v26, s14
                                        ; implicit-def: $vgpr21
                                        ; implicit-def: $vgpr35
                                        ; implicit-def: $vgpr23
                                        ; implicit-def: $vgpr25
                                        ; implicit-def: $vgpr29
                                        ; implicit-def: $vgpr17
                                        ; implicit-def: $vgpr31
                                        ; implicit-def: $vgpr19
                                        ; implicit-def: $vgpr33
                                        ; implicit-def: $vgpr37
                                        ; implicit-def: $vgpr51
                                        ; implicit-def: $vgpr53
                                        ; implicit-def: $vgpr39
                                        ; implicit-def: $vgpr55
                                        ; implicit-def: $vgpr57
                                        ; implicit-def: $vgpr59
                                        ; implicit-def: $vgpr45
                                        ; implicit-def: $vgpr47
                                        ; implicit-def: $vgpr49
                                        ; implicit-def: $vgpr41
                                        ; implicit-def: $vgpr43
	s_xor_b64 exec, exec, s[4:5]
	s_cbranch_execz .LBB0_15
; %bb.12:
	s_add_u32 s6, s16, s6
	s_addc_u32 s7, s17, s7
	s_load_dwordx2 s[6:7], s[6:7], 0x0
	s_mov_b32 s14, 0x4924925
	v_mul_hi_u32 v9, v0, s14
	v_lshlrev_b64 v[5:6], 3, v[5:6]
	v_mov_b32_e32 v26, 0
	s_waitcnt lgkmcnt(0)
	v_mul_lo_u32 v10, s7, v3
	v_mul_lo_u32 v11, s6, v4
	v_mad_u64_u32 v[7:8], s[6:7], s6, v3, 0
	v_mul_u32_u24_e32 v9, 56, v9
	v_sub_u32_e32 v68, v0, v9
	v_add3_u32 v8, v8, v11, v10
	v_lshlrev_b64 v[7:8], 3, v[7:8]
	v_mov_b32_e32 v0, s9
	v_add_co_u32_e32 v7, vcc, s8, v7
	v_addc_co_u32_e32 v0, vcc, v0, v8, vcc
	v_add_co_u32_e32 v5, vcc, v7, v5
	v_addc_co_u32_e32 v0, vcc, v0, v6, vcc
	v_lshlrev_b32_e32 v6, 3, v68
	v_add_co_u32_e32 v5, vcc, v5, v6
	v_addc_co_u32_e32 v6, vcc, 0, v0, vcc
	s_movk_i32 s6, 0x1000
	v_add_co_u32_e32 v7, vcc, s6, v5
	v_addc_co_u32_e32 v8, vcc, 0, v6, vcc
	v_add_co_u32_e32 v9, vcc, 0x2000, v5
	global_load_dwordx2 v[42:43], v[7:8], off offset:1056
	global_load_dwordx2 v[40:41], v[7:8], off offset:1504
	;; [unrolled: 1-line block ×5, first 2 shown]
	v_addc_co_u32_e32 v10, vcc, 0, v6, vcc
	global_load_dwordx2 v[48:49], v[7:8], off offset:3296
	global_load_dwordx2 v[38:39], v[7:8], off offset:3744
	;; [unrolled: 1-line block ×4, first 2 shown]
	global_load_dwordx2 v[20:21], v[5:6], off
	global_load_dwordx2 v[22:23], v[5:6], off offset:448
	global_load_dwordx2 v[24:25], v[5:6], off offset:896
	;; [unrolled: 1-line block ×10, first 2 shown]
	v_cmp_gt_u32_e32 vcc, 28, v68
	v_mov_b32_e32 v27, 0
                                        ; implicit-def: $vgpr58
	s_and_saveexec_b64 s[6:7], vcc
	s_cbranch_execz .LBB0_14
; %bb.13:
	v_add_co_u32_e32 v7, vcc, 0x1000, v5
	v_addc_co_u32_e32 v8, vcc, 0, v6, vcc
	v_add_co_u32_e32 v5, vcc, 0x2000, v5
	v_addc_co_u32_e32 v6, vcc, 0, v6, vcc
	global_load_dwordx2 v[26:27], v[7:8], off offset:384
	global_load_dwordx2 v[58:59], v[5:6], off offset:992
.LBB0_14:
	s_or_b64 exec, exec, s[6:7]
	v_or_b32_e32 v81, 0x1c0, v68
.LBB0_15:
	s_or_b64 exec, exec, s[4:5]
	s_waitcnt vmcnt(1)
	v_sub_f32_e32 v6, v20, v34
	v_fma_f32 v5, v20, 2.0, -v6
	v_lshl_add_u32 v20, v68, 3, 0
	ds_write_b64 v20, v[5:6]
	v_sub_f32_e32 v6, v50, v48
	v_add_u32_e32 v73, 0x150, v68
	v_fma_f32 v5, v50, 2.0, -v6
	v_lshl_add_u32 v34, v73, 3, 0
	v_sub_f32_e32 v8, v22, v42
	ds_write_b64 v34, v[5:6]
	v_sub_f32_e32 v6, v52, v38
	v_add_u32_e32 v42, 0x188, v68
	v_fma_f32 v5, v52, 2.0, -v6
	v_lshl_add_u32 v38, v42, 3, 0
	v_sub_f32_e32 v10, v24, v40
	v_sub_f32_e32 v12, v28, v16
	;; [unrolled: 1-line block ×4, first 2 shown]
	v_add_u32_e32 v70, 56, v68
	v_add_u32_e32 v69, 0x70, v68
	;; [unrolled: 1-line block ×5, first 2 shown]
	ds_write_b64 v38, v[5:6]
	v_sub_f32_e32 v6, v54, v46
	v_fma_f32 v7, v22, 2.0, -v8
	v_fma_f32 v9, v24, 2.0, -v10
	;; [unrolled: 1-line block ×5, first 2 shown]
	v_lshl_add_u32 v22, v70, 3, 0
	v_lshl_add_u32 v24, v69, 3, 0
	;; [unrolled: 1-line block ×5, first 2 shown]
	v_fma_f32 v5, v54, 2.0, -v6
	v_lshl_add_u32 v46, v81, 3, 0
	ds_write_b64 v22, v[7:8]
	ds_write_b64 v24, v[9:10]
	;; [unrolled: 1-line block ×6, first 2 shown]
	s_waitcnt vmcnt(0)
	v_sub_f32_e32 v6, v56, v44
	v_add_u32_e32 v44, 0x1f8, v68
	v_fma_f32 v5, v56, 2.0, -v6
	v_lshl_add_u32 v48, v44, 3, 0
	ds_write_b64 v48, v[5:6]
	v_sub_f32_e32 v6, v26, v58
	v_add_u32_e32 v36, 0x230, v68
	v_fma_f32 v5, v26, 2.0, -v6
	v_cmp_gt_u32_e32 vcc, 28, v68
	v_lshl_add_u32 v26, v36, 3, 0
	s_and_saveexec_b64 s[4:5], vcc
	s_cbranch_execz .LBB0_17
; %bb.16:
	ds_write_b64 v26, v[5:6]
.LBB0_17:
	s_or_b64 exec, exec, s[4:5]
	v_lshl_add_u32 v0, v68, 2, 0
	v_add_u32_e32 v7, 0x600, v0
	s_waitcnt lgkmcnt(0)
	; wave barrier
	s_waitcnt lgkmcnt(0)
	ds_read2_b32 v[15:16], v7 offset0:120 offset1:204
	v_add_u32_e32 v7, 0x800, v0
	ds_read2_b32 v[60:61], v0 offset1:56
	ds_read2_b32 v[13:14], v7 offset0:132 offset1:188
	ds_read2_b32 v[62:63], v0 offset0:112 offset1:168
	v_add_u32_e32 v7, 0xa00, v0
	ds_read2_b32 v[11:12], v7 offset0:116 offset1:172
	v_add_u32_e32 v7, 0x200, v0
	;; [unrolled: 2-line block ×4, first 2 shown]
	v_lshlrev_b32_e32 v18, 2, v81
	ds_read2_b32 v[66:67], v7 offset0:80 offset1:136
	v_add_u32_e32 v7, 0xe00, v0
	v_sub_u32_e32 v40, v46, v18
	ds_read2_b32 v[7:8], v7 offset0:84 offset1:140
	ds_read_b32 v40, v40
	ds_read_b32 v83, v0 offset:4368
	s_and_saveexec_b64 s[4:5], vcc
	s_cbranch_execz .LBB0_19
; %bb.18:
	ds_read_b32 v5, v0 offset:2240
	ds_read_b32 v6, v0 offset:4592
.LBB0_19:
	s_or_b64 exec, exec, s[4:5]
	v_sub_u32_e32 v50, 0, v18
	v_sub_f32_e32 v76, v21, v35
	v_sub_f32_e32 v18, v27, v59
	v_fma_f32 v75, v21, 2.0, -v76
	v_sub_f32_e32 v78, v23, v43
	v_sub_f32_e32 v80, v25, v41
	;; [unrolled: 1-line block ×9, first 2 shown]
	v_fma_f32 v17, v27, 2.0, -v18
	v_fma_f32 v77, v23, 2.0, -v78
	;; [unrolled: 1-line block ×10, first 2 shown]
	s_waitcnt lgkmcnt(0)
	; wave barrier
	s_waitcnt lgkmcnt(0)
	ds_write_b64 v20, v[75:76]
	ds_write_b64 v22, v[77:78]
	;; [unrolled: 1-line block ×10, first 2 shown]
	s_and_saveexec_b64 s[4:5], vcc
	s_cbranch_execz .LBB0_21
; %bb.20:
	ds_write_b64 v26, v[17:18]
.LBB0_21:
	s_or_b64 exec, exec, s[4:5]
	v_add_u32_e32 v19, 0x600, v0
	v_add_u32_e32 v23, 0x800, v0
	;; [unrolled: 1-line block ×4, first 2 shown]
	s_waitcnt lgkmcnt(0)
	; wave barrier
	s_waitcnt lgkmcnt(0)
	ds_read2_b32 v[21:22], v0 offset1:56
	ds_read2_b32 v[19:20], v19 offset0:120 offset1:204
	ds_read2_b32 v[37:38], v23 offset0:132 offset1:188
	;; [unrolled: 1-line block ×4, first 2 shown]
	v_add_u32_e32 v25, 0x200, v0
	ds_read2_b32 v[31:32], v27 offset0:100 offset1:156
	v_add_u32_e32 v27, 0x400, v0
	v_add_u32_e32 v29, 0xe00, v0
	;; [unrolled: 1-line block ×3, first 2 shown]
	ds_read2_b32 v[25:26], v25 offset0:96 offset1:152
	ds_read2_b32 v[27:28], v27 offset0:80 offset1:136
	;; [unrolled: 1-line block ×3, first 2 shown]
	ds_read_b32 v86, v84
	ds_read_b32 v87, v0 offset:4368
	v_lshlrev_b32_e32 v58, 1, v68
	v_lshlrev_b32_e32 v59, 1, v70
	v_lshlrev_b32_e32 v75, 1, v69
	v_lshlrev_b32_e32 v76, 1, v74
	v_lshlrev_b32_e32 v77, 1, v72
	v_lshlrev_b32_e32 v78, 1, v71
	v_lshlrev_b32_e32 v79, 1, v73
	v_lshlrev_b32_e32 v80, 1, v42
	v_lshlrev_b32_e32 v81, 1, v81
	v_lshlrev_b32_e32 v82, 1, v44
	s_and_saveexec_b64 s[4:5], vcc
	s_cbranch_execz .LBB0_23
; %bb.22:
	ds_read_b32 v17, v0 offset:2240
	ds_read_b32 v18, v0 offset:4592
.LBB0_23:
	s_or_b64 exec, exec, s[4:5]
	v_and_b32_e32 v85, 1, v68
	v_lshlrev_b32_e32 v35, 3, v85
	global_load_dwordx2 v[47:48], v35, s[12:13]
	s_movk_i32 s4, 0x7c
	s_waitcnt lgkmcnt(0)
	; wave barrier
	s_waitcnt lgkmcnt(0)
	s_movk_i32 s5, 0x2fc
	s_waitcnt vmcnt(0)
	v_mul_f32_e32 v35, v20, v48
	v_mul_f32_e32 v51, v18, v48
	v_fma_f32 v35, v16, v47, -v35
	v_mul_f32_e32 v50, v87, v48
	v_fma_f32 v51, v6, v47, -v51
	v_fma_f32 v50, v83, v47, -v50
	v_sub_f32_e32 v35, v60, v35
	v_sub_f32_e32 v57, v5, v51
	v_mul_f32_e32 v43, v34, v48
	v_fma_f32 v52, v60, 2.0, -v35
	v_sub_f32_e32 v50, v15, v50
	v_fma_f32 v60, v5, 2.0, -v57
	v_and_or_b32 v5, v58, s4, v85
	s_movk_i32 s4, 0xfc
	v_mul_f32_e32 v39, v37, v48
	v_fma_f32 v43, v12, v47, -v43
	v_mul_f32_e32 v44, v31, v48
	v_fma_f32 v92, v15, 2.0, -v50
	v_lshl_add_u32 v5, v5, 2, 0
	v_and_or_b32 v15, v59, s4, v85
	s_movk_i32 s4, 0x1fc
	v_fma_f32 v39, v13, v47, -v39
	v_mul_f32_e32 v41, v38, v48
	v_fma_f32 v44, v9, v47, -v44
	v_mul_f32_e32 v45, v32, v48
	v_sub_f32_e32 v43, v64, v43
	ds_write2_b32 v5, v52, v35 offset1:2
	v_and_or_b32 v35, v75, s4, v85
	v_fma_f32 v41, v14, v47, -v41
	v_mul_f32_e32 v42, v33, v48
	v_fma_f32 v45, v10, v47, -v45
	v_mul_f32_e32 v46, v29, v48
	v_sub_f32_e32 v39, v61, v39
	v_fma_f32 v56, v64, 2.0, -v43
	v_sub_f32_e32 v44, v65, v44
	v_lshl_add_u32 v64, v35, 2, 0
	v_and_or_b32 v35, v76, s4, v85
	s_movk_i32 s4, 0x3fc
	v_fma_f32 v42, v11, v47, -v42
	v_fma_f32 v46, v7, v47, -v46
	v_fma_f32 v53, v61, 2.0, -v39
	v_sub_f32_e32 v41, v62, v41
	v_fma_f32 v61, v65, 2.0, -v44
	v_sub_f32_e32 v45, v66, v45
	v_lshl_add_u32 v65, v35, 2, 0
	v_and_or_b32 v35, v77, s4, v85
	v_fma_f32 v54, v62, 2.0, -v41
	v_sub_f32_e32 v42, v63, v42
	v_fma_f32 v62, v66, 2.0, -v45
	v_sub_f32_e32 v46, v67, v46
	v_lshl_add_u32 v66, v35, 2, 0
	v_and_or_b32 v35, v78, s5, v85
	v_fma_f32 v55, v63, 2.0, -v42
	v_fma_f32 v63, v67, 2.0, -v46
	v_lshl_add_u32 v67, v35, 2, 0
	v_and_or_b32 v35, v79, s4, v85
	v_mul_f32_e32 v49, v30, v48
	v_lshl_add_u32 v88, v35, 2, 0
	v_and_or_b32 v35, v80, s4, v85
	v_fma_f32 v49, v8, v47, -v49
	v_lshl_add_u32 v89, v35, 2, 0
	v_and_or_b32 v35, v81, s4, v85
	s_movk_i32 s4, 0x7fc
	v_sub_f32_e32 v49, v40, v49
	v_lshl_add_u32 v15, v15, 2, 0
	v_lshl_add_u32 v90, v35, 2, 0
	v_and_or_b32 v35, v82, s4, v85
	v_fma_f32 v40, v40, 2.0, -v49
	ds_write2_b32 v15, v53, v39 offset1:2
	ds_write2_b32 v64, v54, v41 offset1:2
	;; [unrolled: 1-line block ×5, first 2 shown]
	v_lshl_add_u32 v91, v35, 2, 0
	v_lshlrev_b32_e32 v61, 1, v36
	ds_write2_b32 v88, v62, v45 offset1:2
	ds_write2_b32 v89, v63, v46 offset1:2
	ds_write2_b32 v90, v40, v49 offset1:2
	ds_write2_b32 v91, v92, v50 offset1:2
	s_and_saveexec_b64 s[4:5], vcc
	s_cbranch_execz .LBB0_25
; %bb.24:
	s_movk_i32 s6, 0x4fc
	v_and_or_b32 v35, v61, s6, v85
	v_lshl_add_u32 v35, v35, 2, 0
	ds_write2_b32 v35, v60, v57 offset1:2
.LBB0_25:
	s_or_b64 exec, exec, s[4:5]
	v_add_u32_e32 v35, 0x600, v0
	s_waitcnt lgkmcnt(0)
	; wave barrier
	s_waitcnt lgkmcnt(0)
	ds_read2_b32 v[45:46], v35 offset0:120 offset1:204
	v_add_u32_e32 v35, 0x800, v0
	ds_read2_b32 v[49:50], v0 offset1:56
	ds_read2_b32 v[43:44], v35 offset0:132 offset1:188
	ds_read2_b32 v[51:52], v0 offset0:112 offset1:168
	v_add_u32_e32 v35, 0xa00, v0
	ds_read2_b32 v[41:42], v35 offset0:116 offset1:172
	v_add_u32_e32 v35, 0x200, v0
	;; [unrolled: 2-line block ×5, first 2 shown]
	ds_read2_b32 v[35:36], v35 offset0:84 offset1:140
	ds_read_b32 v63, v84
	ds_read_b32 v62, v0 offset:4368
	s_and_saveexec_b64 s[4:5], vcc
	s_cbranch_execz .LBB0_27
; %bb.26:
	ds_read_b32 v60, v0 offset:2240
	ds_read_b32 v57, v0 offset:4592
.LBB0_27:
	s_or_b64 exec, exec, s[4:5]
	v_mul_f32_e32 v16, v16, v48
	v_mul_f32_e32 v6, v6, v48
	v_fmac_f32_e32 v16, v20, v47
	v_mul_f32_e32 v13, v13, v48
	v_mul_f32_e32 v14, v14, v48
	;; [unrolled: 1-line block ×9, first 2 shown]
	v_fmac_f32_e32 v6, v18, v47
	v_fmac_f32_e32 v13, v37, v47
	;; [unrolled: 1-line block ×10, first 2 shown]
	v_sub_f32_e32 v16, v21, v16
	v_sub_f32_e32 v33, v17, v6
	v_fma_f32 v18, v21, 2.0, -v16
	v_sub_f32_e32 v13, v22, v13
	v_sub_f32_e32 v14, v23, v14
	;; [unrolled: 1-line block ×9, first 2 shown]
	v_fma_f32 v32, v17, 2.0, -v33
	v_fma_f32 v21, v22, 2.0, -v13
	;; [unrolled: 1-line block ×10, first 2 shown]
	s_waitcnt lgkmcnt(0)
	; wave barrier
	s_waitcnt lgkmcnt(0)
	ds_write2_b32 v5, v18, v16 offset1:2
	ds_write2_b32 v15, v21, v13 offset1:2
	;; [unrolled: 1-line block ×10, first 2 shown]
	s_and_saveexec_b64 s[4:5], vcc
	s_cbranch_execz .LBB0_29
; %bb.28:
	s_movk_i32 s6, 0x4fc
	v_and_or_b32 v5, v61, s6, v85
	v_lshl_add_u32 v5, v5, 2, 0
	ds_write2_b32 v5, v32, v33 offset1:2
.LBB0_29:
	s_or_b64 exec, exec, s[4:5]
	v_add_u32_e32 v5, 0x600, v0
	v_add_u32_e32 v9, 0x800, v0
	;; [unrolled: 1-line block ×3, first 2 shown]
	s_waitcnt lgkmcnt(0)
	; wave barrier
	s_waitcnt lgkmcnt(0)
	ds_read2_b32 v[7:8], v0 offset1:56
	ds_read2_b32 v[5:6], v5 offset0:120 offset1:204
	ds_read2_b32 v[23:24], v9 offset0:132 offset1:188
	;; [unrolled: 1-line block ×3, first 2 shown]
	v_add_u32_e32 v11, 0xa00, v0
	ds_read2_b32 v[19:20], v13 offset0:100 offset1:156
	v_add_u32_e32 v13, 0x400, v0
	ds_read2_b32 v[21:22], v11 offset0:116 offset1:172
	;; [unrolled: 2-line block ×4, first 2 shown]
	ds_read2_b32 v[17:18], v13 offset0:84 offset1:140
	ds_read_b32 v25, v84
	ds_read_b32 v26, v0 offset:4368
	s_and_saveexec_b64 s[4:5], vcc
	s_cbranch_execz .LBB0_31
; %bb.30:
	ds_read_b32 v32, v0 offset:2240
	ds_read_b32 v33, v0 offset:4592
.LBB0_31:
	s_or_b64 exec, exec, s[4:5]
	v_and_b32_e32 v34, 3, v68
	v_lshlrev_b32_e32 v13, 3, v34
	global_load_dwordx2 v[13:14], v13, s[12:13] offset:16
	s_movk_i32 s4, 0x78
	s_movk_i32 s5, 0xf8
	;; [unrolled: 1-line block ×4, first 2 shown]
	v_and_or_b32 v27, v58, s4, v34
	s_movk_i32 s8, 0x2f8
	v_and_or_b32 v28, v59, s5, v34
	v_and_or_b32 v29, v75, s6, v34
	;; [unrolled: 1-line block ×4, first 2 shown]
	v_lshl_add_u32 v37, v27, 2, 0
	s_movk_i32 s9, 0x7f8
	v_and_or_b32 v59, v78, s8, v34
	v_and_or_b32 v64, v79, s7, v34
	v_lshl_add_u32 v38, v28, 2, 0
	v_lshl_add_u32 v47, v29, 2, 0
	;; [unrolled: 1-line block ×4, first 2 shown]
	v_and_or_b32 v65, v80, s7, v34
	v_and_or_b32 v66, v81, s7, v34
	;; [unrolled: 1-line block ×3, first 2 shown]
	v_lshl_add_u32 v59, v59, 2, 0
	v_lshl_add_u32 v64, v64, 2, 0
	;; [unrolled: 1-line block ×5, first 2 shown]
	s_waitcnt lgkmcnt(0)
	; wave barrier
	s_waitcnt vmcnt(0) lgkmcnt(0)
	v_mul_f32_e32 v27, v6, v14
	v_mul_f32_e32 v28, v23, v14
	;; [unrolled: 1-line block ×10, first 2 shown]
	v_fma_f32 v27, v46, v13, -v27
	v_fma_f32 v28, v43, v13, -v28
	;; [unrolled: 1-line block ×10, first 2 shown]
	v_sub_f32_e32 v27, v49, v27
	v_sub_f32_e32 v28, v50, v28
	;; [unrolled: 1-line block ×10, first 2 shown]
	v_fma_f32 v49, v49, 2.0, -v27
	v_fma_f32 v50, v50, 2.0, -v28
	;; [unrolled: 1-line block ×10, first 2 shown]
	ds_write2_b32 v37, v49, v27 offset1:4
	ds_write2_b32 v38, v50, v28 offset1:4
	;; [unrolled: 1-line block ×10, first 2 shown]
	s_and_saveexec_b64 s[4:5], vcc
	s_cbranch_execz .LBB0_33
; %bb.32:
	v_mul_f32_e32 v28, v33, v14
	s_movk_i32 s6, 0x4f8
	v_fma_f32 v28, v57, v13, -v28
	v_and_or_b32 v27, v61, s6, v34
	v_sub_f32_e32 v28, v60, v28
	v_lshl_add_u32 v27, v27, 2, 0
	v_fma_f32 v29, v60, 2.0, -v28
	ds_write2_b32 v27, v29, v28 offset1:4
.LBB0_33:
	s_or_b64 exec, exec, s[4:5]
	v_mul_f32_e32 v27, v46, v14
	v_fmac_f32_e32 v27, v6, v13
	v_mul_f32_e32 v6, v43, v14
	v_fmac_f32_e32 v6, v23, v13
	;; [unrolled: 2-line block ×10, first 2 shown]
	v_sub_f32_e32 v36, v7, v27
	v_sub_f32_e32 v42, v9, v23
	;; [unrolled: 1-line block ×7, first 2 shown]
	v_add_u32_e32 v27, 0x400, v0
	v_add_u32_e32 v28, 0xc00, v0
	v_sub_f32_e32 v40, v8, v6
	v_fma_f32 v43, v9, 2.0, -v42
	v_fma_f32 v45, v10, 2.0, -v44
	v_fma_f32 v49, v11, 2.0, -v46
	v_fma_f32 v51, v12, 2.0, -v50
	v_sub_f32_e32 v52, v15, v19
	v_sub_f32_e32 v54, v16, v20
	v_fma_f32 v60, v25, 2.0, -v56
	v_fma_f32 v63, v5, 2.0, -v62
	s_waitcnt lgkmcnt(0)
	; wave barrier
	s_waitcnt lgkmcnt(0)
	ds_read2_b32 v[11:12], v0 offset1:56
	ds_read2_b32 v[5:6], v27 offset0:80 offset1:136
	ds_read2_b32 v[25:26], v28 offset0:16 offset1:72
	;; [unrolled: 1-line block ×5, first 2 shown]
	v_add_u32_e32 v29, 0x800, v0
	v_add_u32_e32 v30, 0x200, v0
	;; [unrolled: 1-line block ×3, first 2 shown]
	v_fma_f32 v39, v7, 2.0, -v36
	v_fma_f32 v41, v8, 2.0, -v40
	;; [unrolled: 1-line block ×4, first 2 shown]
	ds_read2_b32 v[19:20], v29 offset0:48 offset1:104
	ds_read2_b32 v[7:8], v30 offset0:96 offset1:152
	ds_read2_b32 v[17:18], v31 offset0:112 offset1:168
	ds_read2_b32 v[15:16], v29 offset0:160 offset1:216
	ds_read_b32 v35, v0 offset:4480
	s_waitcnt lgkmcnt(0)
	; wave barrier
	s_waitcnt lgkmcnt(0)
	ds_write2_b32 v37, v39, v36 offset1:4
	ds_write2_b32 v38, v41, v40 offset1:4
	;; [unrolled: 1-line block ×10, first 2 shown]
	s_and_saveexec_b64 s[4:5], vcc
	s_cbranch_execz .LBB0_35
; %bb.34:
	v_mul_f32_e32 v14, v57, v14
	v_fmac_f32_e32 v14, v33, v13
	v_sub_f32_e32 v13, v32, v14
	s_movk_i32 s6, 0x4f8
	v_fma_f32 v14, v32, 2.0, -v13
	v_and_or_b32 v32, v61, s6, v34
	v_lshl_add_u32 v32, v32, 2, 0
	ds_write2_b32 v32, v14, v13 offset1:4
.LBB0_35:
	s_or_b64 exec, exec, s[4:5]
	v_and_b32_e32 v34, 7, v68
	v_lshlrev_b32_e32 v13, 4, v34
	s_waitcnt lgkmcnt(0)
	; wave barrier
	s_waitcnt lgkmcnt(0)
	global_load_dwordx4 v[36:39], v13, s[12:13] offset:48
	ds_read2_b32 v[13:14], v0 offset1:56
	ds_read2_b32 v[32:33], v27 offset0:80 offset1:136
	ds_read2_b32 v[40:41], v28 offset0:16 offset1:72
	;; [unrolled: 1-line block ×9, first 2 shown]
	ds_read_b32 v56, v0 offset:4480
	s_waitcnt lgkmcnt(0)
	; wave barrier
	s_waitcnt lgkmcnt(0)
	s_movk_i32 s4, 0xab
	s_mov_b32 s5, 0x3f3bfb3b
	s_mov_b32 s6, 0xbf3bfb3b
	;; [unrolled: 1-line block ×3, first 2 shown]
	s_waitcnt vmcnt(0)
	v_mul_f32_e32 v57, v33, v37
	v_mul_f32_e32 v59, v40, v39
	;; [unrolled: 1-line block ×16, first 2 shown]
	v_fma_f32 v6, v6, v36, -v57
	v_fma_f32 v25, v25, v38, -v59
	v_mul_f32_e32 v64, v26, v39
	v_mul_f32_e32 v89, v56, v39
	v_fmac_f32_e32 v58, v33, v36
	v_fmac_f32_e32 v60, v40, v38
	v_fma_f32 v23, v23, v36, -v61
	v_fmac_f32_e32 v62, v42, v36
	v_fma_f32 v24, v24, v36, -v65
	;; [unrolled: 2-line block ×6, first 2 shown]
	v_fmac_f32_e32 v37, v55, v36
	v_add_f32_e32 v36, v6, v25
	v_mul_f32_e32 v63, v41, v39
	v_mul_f32_e32 v67, v46, v39
	v_mul_f32_e32 v75, v21, v39
	v_mul_f32_e32 v78, v47, v39
	v_mul_f32_e32 v79, v22, v39
	v_mul_f32_e32 v82, v52, v39
	v_mul_f32_e32 v83, v17, v39
	v_mul_f32_e32 v86, v53, v39
	v_mul_f32_e32 v87, v18, v39
	v_mul_f32_e32 v39, v35, v39
	v_fmac_f32_e32 v64, v41, v38
	v_fma_f32 v33, v35, v38, -v89
	v_add_f32_e32 v35, v11, v6
	v_add_f32_e32 v41, v58, v60
	v_fma_f32 v11, -0.5, v36, v11
	v_fma_f32 v26, v26, v38, -v63
	v_fma_f32 v21, v21, v38, -v67
	v_fmac_f32_e32 v75, v46, v38
	v_fma_f32 v22, v22, v38, -v78
	v_fmac_f32_e32 v79, v47, v38
	;; [unrolled: 2-line block ×4, first 2 shown]
	v_fmac_f32_e32 v39, v56, v38
	v_sub_f32_e32 v38, v58, v60
	v_add_f32_e32 v40, v13, v58
	v_fma_f32 v13, -0.5, v41, v13
	v_mov_b32_e32 v36, v11
	v_sub_f32_e32 v6, v6, v25
	v_add_f32_e32 v25, v35, v25
	v_add_f32_e32 v35, v40, v60
	v_fmac_f32_e32 v11, 0xbf5db3d7, v38
	v_mov_b32_e32 v40, v13
	v_fmac_f32_e32 v36, 0x3f5db3d7, v38
	v_add_f32_e32 v38, v23, v26
	v_fmac_f32_e32 v13, 0x3f5db3d7, v6
	v_fmac_f32_e32 v40, 0xbf5db3d7, v6
	v_add_f32_e32 v6, v12, v23
	v_fmac_f32_e32 v12, -0.5, v38
	v_sub_f32_e32 v38, v62, v64
	v_mov_b32_e32 v41, v12
	v_add_f32_e32 v42, v62, v64
	v_fmac_f32_e32 v41, 0x3f5db3d7, v38
	v_fmac_f32_e32 v12, 0xbf5db3d7, v38
	v_add_f32_e32 v38, v14, v62
	v_fmac_f32_e32 v14, -0.5, v42
	v_add_f32_e32 v6, v6, v26
	v_sub_f32_e32 v23, v23, v26
	v_mov_b32_e32 v42, v14
	v_add_f32_e32 v26, v24, v21
	v_fmac_f32_e32 v42, 0xbf5db3d7, v23
	v_fmac_f32_e32 v14, 0x3f5db3d7, v23
	v_add_f32_e32 v23, v9, v24
	v_fma_f32 v9, -0.5, v26, v9
	v_sub_f32_e32 v26, v66, v75
	v_mov_b32_e32 v43, v9
	v_fmac_f32_e32 v43, 0x3f5db3d7, v26
	v_fmac_f32_e32 v9, 0xbf5db3d7, v26
	v_add_f32_e32 v26, v44, v66
	v_add_f32_e32 v46, v26, v75
	;; [unrolled: 1-line block ×3, first 2 shown]
	v_fma_f32 v44, -0.5, v26, v44
	v_add_f32_e32 v23, v23, v21
	v_sub_f32_e32 v21, v24, v21
	v_mov_b32_e32 v24, v44
	v_add_f32_e32 v26, v19, v22
	v_fmac_f32_e32 v24, 0xbf5db3d7, v21
	v_fmac_f32_e32 v44, 0x3f5db3d7, v21
	v_add_f32_e32 v21, v10, v19
	v_fmac_f32_e32 v10, -0.5, v26
	v_sub_f32_e32 v26, v77, v79
	v_mov_b32_e32 v47, v10
	v_fmac_f32_e32 v47, 0x3f5db3d7, v26
	v_fmac_f32_e32 v10, 0xbf5db3d7, v26
	v_add_f32_e32 v26, v45, v77
	v_add_f32_e32 v75, v26, v79
	;; [unrolled: 1-line block ×3, first 2 shown]
	v_fmac_f32_e32 v45, -0.5, v26
	v_add_f32_e32 v21, v21, v22
	v_sub_f32_e32 v19, v19, v22
	v_mov_b32_e32 v22, v45
	v_add_f32_e32 v26, v20, v17
	v_fmac_f32_e32 v22, 0xbf5db3d7, v19
	v_fmac_f32_e32 v45, 0x3f5db3d7, v19
	v_add_f32_e32 v19, v7, v20
	v_fma_f32 v7, -0.5, v26, v7
	v_sub_f32_e32 v26, v81, v83
	v_mov_b32_e32 v48, v7
	v_fmac_f32_e32 v48, 0x3f5db3d7, v26
	v_fmac_f32_e32 v7, 0xbf5db3d7, v26
	v_add_f32_e32 v26, v50, v81
	v_add_f32_e32 v76, v26, v83
	v_add_f32_e32 v26, v81, v83
	v_fma_f32 v50, -0.5, v26, v50
	v_add_f32_e32 v19, v19, v17
	v_sub_f32_e32 v17, v20, v17
	v_mov_b32_e32 v20, v50
	v_add_f32_e32 v26, v15, v18
	v_fmac_f32_e32 v20, 0xbf5db3d7, v17
	v_fmac_f32_e32 v50, 0x3f5db3d7, v17
	v_add_f32_e32 v17, v8, v15
	v_fmac_f32_e32 v8, -0.5, v26
	v_sub_f32_e32 v26, v85, v87
	v_mov_b32_e32 v49, v8
	v_fmac_f32_e32 v49, 0x3f5db3d7, v26
	v_fmac_f32_e32 v8, 0xbf5db3d7, v26
	v_add_f32_e32 v26, v51, v85
	v_add_f32_e32 v77, v26, v87
	;; [unrolled: 1-line block ×3, first 2 shown]
	v_fmac_f32_e32 v51, -0.5, v26
	v_add_f32_e32 v17, v17, v18
	v_sub_f32_e32 v15, v15, v18
	v_mov_b32_e32 v18, v51
	v_add_f32_e32 v26, v16, v33
	v_fmac_f32_e32 v18, 0xbf5db3d7, v15
	v_fmac_f32_e32 v51, 0x3f5db3d7, v15
	v_add_f32_e32 v15, v5, v16
	v_fmac_f32_e32 v5, -0.5, v26
	v_sub_f32_e32 v26, v37, v39
	v_mov_b32_e32 v52, v5
	v_fmac_f32_e32 v52, 0x3f5db3d7, v26
	v_fmac_f32_e32 v5, 0xbf5db3d7, v26
	v_add_f32_e32 v26, v32, v37
	v_add_f32_e32 v78, v26, v39
	;; [unrolled: 1-line block ×3, first 2 shown]
	v_fmac_f32_e32 v32, -0.5, v26
	v_add_f32_e32 v15, v15, v33
	v_sub_f32_e32 v16, v16, v33
	v_mov_b32_e32 v33, v32
	v_fmac_f32_e32 v33, 0xbf5db3d7, v16
	v_fmac_f32_e32 v32, 0x3f5db3d7, v16
	v_lshrrev_b32_e32 v16, 3, v68
	v_mul_u32_u24_e32 v16, 24, v16
	v_or_b32_e32 v16, v16, v34
	v_lshl_add_u32 v16, v16, 2, 0
	ds_write2_b32 v16, v25, v36 offset1:8
	ds_write_b32 v16, v11 offset:64
	v_lshrrev_b32_e32 v11, 3, v70
	v_mul_u32_u24_e32 v11, 24, v11
	v_or_b32_e32 v11, v11, v34
	v_lshl_add_u32 v11, v11, 2, 0
	ds_write2_b32 v11, v6, v41 offset1:8
	ds_write_b32 v11, v12 offset:64
	v_lshrrev_b32_e32 v6, 3, v69
	v_mul_u32_u24_e32 v6, 24, v6
	v_or_b32_e32 v6, v6, v34
	v_lshl_add_u32 v6, v6, 2, 0
	ds_write2_b32 v6, v23, v43 offset1:8
	ds_write_b32 v6, v9 offset:64
	v_lshrrev_b32_e32 v9, 3, v74
	v_mul_u32_u24_e32 v9, 24, v9
	v_or_b32_e32 v9, v9, v34
	v_lshl_add_u32 v9, v9, 2, 0
	ds_write2_b32 v9, v21, v47 offset1:8
	ds_write_b32 v9, v10 offset:64
	v_lshrrev_b32_e32 v10, 3, v72
	v_mul_u32_u24_e32 v10, 24, v10
	v_or_b32_e32 v10, v10, v34
	v_lshl_add_u32 v10, v10, 2, 0
	ds_write2_b32 v10, v19, v48 offset1:8
	ds_write_b32 v10, v7 offset:64
	v_lshrrev_b32_e32 v7, 3, v71
	v_mul_u32_u24_e32 v7, 24, v7
	v_or_b32_e32 v7, v7, v34
	v_lshl_add_u32 v7, v7, 2, 0
	ds_write2_b32 v7, v17, v49 offset1:8
	ds_write_b32 v7, v8 offset:64
	v_lshrrev_b32_e32 v8, 3, v73
	v_mul_u32_u24_e32 v8, 24, v8
	v_or_b32_e32 v8, v8, v34
	v_lshl_add_u32 v8, v8, 2, 0
	ds_write2_b32 v8, v15, v52 offset1:8
	ds_write_b32 v8, v5 offset:64
	v_mul_lo_u16_sdwa v5, v68, s4 dst_sel:DWORD dst_unused:UNUSED_PAD src0_sel:BYTE_0 src1_sel:DWORD
	v_lshrrev_b16_e32 v89, 12, v5
	v_mul_lo_u16_e32 v5, 24, v89
	v_sub_u16_e32 v90, v68, v5
	v_mov_b32_e32 v36, 6
	v_mul_u32_u24_sdwa v5, v90, v36 dst_sel:DWORD dst_unused:UNUSED_PAD src0_sel:BYTE_0 src1_sel:DWORD
	v_lshlrev_b32_e32 v17, 3, v5
	v_add_f32_e32 v38, v38, v64
	s_waitcnt lgkmcnt(0)
	; wave barrier
	s_waitcnt lgkmcnt(0)
	ds_read2_b32 v[25:26], v0 offset1:56
	ds_read2_b32 v[48:49], v0 offset0:112 offset1:168
	ds_read2_b32 v[52:53], v27 offset0:80 offset1:136
	;; [unrolled: 1-line block ×9, first 2 shown]
	ds_read_b32 v88, v0 offset:4480
	s_waitcnt lgkmcnt(0)
	; wave barrier
	s_waitcnt lgkmcnt(0)
	ds_write2_b32 v16, v35, v40 offset1:8
	ds_write_b32 v16, v13 offset:64
	ds_write2_b32 v11, v38, v42 offset1:8
	ds_write_b32 v11, v14 offset:64
	;; [unrolled: 2-line block ×7, first 2 shown]
	s_waitcnt lgkmcnt(0)
	; wave barrier
	s_waitcnt lgkmcnt(0)
	global_load_dwordx4 v[5:8], v17, s[12:13] offset:176
	global_load_dwordx4 v[9:12], v17, s[12:13] offset:192
	;; [unrolled: 1-line block ×3, first 2 shown]
	v_mul_lo_u16_sdwa v17, v70, s4 dst_sel:DWORD dst_unused:UNUSED_PAD src0_sel:BYTE_0 src1_sel:DWORD
	v_lshrrev_b16_e32 v91, 12, v17
	v_mul_lo_u16_e32 v17, 24, v91
	v_sub_u16_e32 v92, v70, v17
	v_mul_u32_u24_sdwa v17, v92, v36 dst_sel:DWORD dst_unused:UNUSED_PAD src0_sel:BYTE_0 src1_sel:DWORD
	v_lshlrev_b32_e32 v37, 3, v17
	global_load_dwordx4 v[17:20], v37, s[12:13] offset:176
	global_load_dwordx4 v[21:24], v37, s[12:13] offset:192
	;; [unrolled: 1-line block ×3, first 2 shown]
	v_mul_lo_u16_sdwa v37, v69, s4 dst_sel:DWORD dst_unused:UNUSED_PAD src0_sel:BYTE_0 src1_sel:DWORD
	v_lshrrev_b16_e32 v93, 12, v37
	v_mul_lo_u16_e32 v37, 24, v93
	v_sub_u16_e32 v94, v69, v37
	v_mul_u32_u24_sdwa v36, v94, v36 dst_sel:DWORD dst_unused:UNUSED_PAD src0_sel:BYTE_0 src1_sel:DWORD
	v_lshlrev_b32_e32 v50, 3, v36
	global_load_dwordx4 v[36:39], v50, s[12:13] offset:176
	global_load_dwordx4 v[40:43], v50, s[12:13] offset:192
	;; [unrolled: 1-line block ×3, first 2 shown]
	ds_read2_b32 v[50:51], v0 offset1:56
	ds_read2_b32 v[70:71], v0 offset0:112 offset1:168
	ds_read2_b32 v[72:73], v27 offset0:80 offset1:136
	;; [unrolled: 1-line block ×9, first 2 shown]
	ds_read_b32 v95, v0 offset:4480
	s_mov_b32 s4, 0x3f5ff5aa
	s_waitcnt lgkmcnt(0)
	; wave barrier
	s_waitcnt vmcnt(8) lgkmcnt(0)
	v_mul_f32_e32 v96, v71, v6
	v_mul_f32_e32 v6, v49, v6
	v_fma_f32 v96, v49, v5, -v96
	v_fmac_f32_e32 v6, v71, v5
	v_mul_f32_e32 v5, v72, v8
	v_mul_f32_e32 v8, v52, v8
	v_fma_f32 v5, v52, v7, -v5
	v_fmac_f32_e32 v8, v72, v7
	s_waitcnt vmcnt(7)
	v_mul_f32_e32 v7, v75, v10
	v_mul_f32_e32 v10, v55, v10
	v_fma_f32 v7, v55, v9, -v7
	v_fmac_f32_e32 v10, v75, v9
	v_mul_f32_e32 v9, v76, v12
	v_mul_f32_e32 v12, v56, v12
	v_fma_f32 v9, v56, v11, -v9
	v_fmac_f32_e32 v12, v76, v11
	s_waitcnt vmcnt(6)
	v_mul_f32_e32 v11, v79, v14
	v_mul_f32_e32 v14, v59, v14
	v_fma_f32 v11, v59, v13, -v11
	v_fmac_f32_e32 v14, v79, v13
	v_mul_f32_e32 v13, v80, v16
	v_mul_f32_e32 v16, v60, v16
	v_fma_f32 v13, v60, v15, -v13
	v_fmac_f32_e32 v16, v80, v15
	s_waitcnt vmcnt(5)
	v_mul_f32_e32 v15, v82, v18
	v_mul_f32_e32 v18, v62, v18
	v_fma_f32 v15, v62, v17, -v15
	v_fmac_f32_e32 v18, v82, v17
	v_mul_f32_e32 v17, v73, v20
	v_mul_f32_e32 v20, v53, v20
	v_fma_f32 v17, v53, v19, -v17
	v_fmac_f32_e32 v20, v73, v19
	s_waitcnt vmcnt(4)
	v_mul_f32_e32 v19, v84, v22
	v_mul_f32_e32 v22, v64, v22
	v_fma_f32 v19, v64, v21, -v19
	v_fmac_f32_e32 v22, v84, v21
	v_mul_f32_e32 v21, v77, v24
	v_mul_f32_e32 v24, v57, v24
	v_fma_f32 v21, v57, v23, -v21
	v_fmac_f32_e32 v24, v77, v23
	s_waitcnt vmcnt(3)
	v_mul_f32_e32 v23, v86, v33
	v_mul_f32_e32 v33, v66, v33
	v_fma_f32 v23, v66, v32, -v23
	v_fmac_f32_e32 v33, v86, v32
	v_mul_f32_e32 v32, v81, v35
	v_mul_f32_e32 v35, v61, v35
	v_fma_f32 v32, v61, v34, -v32
	v_fmac_f32_e32 v35, v81, v34
	s_waitcnt vmcnt(2)
	v_mul_f32_e32 v34, v83, v37
	v_mul_f32_e32 v37, v63, v37
	v_fma_f32 v34, v63, v36, -v34
	v_fmac_f32_e32 v37, v83, v36
	v_mul_f32_e32 v36, v74, v39
	v_mul_f32_e32 v39, v54, v39
	v_fma_f32 v36, v54, v38, -v36
	v_fmac_f32_e32 v39, v74, v38
	s_waitcnt vmcnt(1)
	v_mul_f32_e32 v38, v85, v41
	v_mul_f32_e32 v41, v65, v41
	v_fma_f32 v38, v65, v40, -v38
	v_fmac_f32_e32 v41, v85, v40
	v_mul_f32_e32 v40, v78, v43
	v_mul_f32_e32 v43, v58, v43
	v_fma_f32 v40, v58, v42, -v40
	v_fmac_f32_e32 v43, v78, v42
	s_waitcnt vmcnt(0)
	v_mul_f32_e32 v42, v87, v45
	v_mul_f32_e32 v45, v67, v45
	v_fma_f32 v42, v67, v44, -v42
	v_fmac_f32_e32 v45, v87, v44
	v_mul_f32_e32 v44, v95, v47
	v_mul_f32_e32 v47, v88, v47
	v_fma_f32 v44, v88, v46, -v44
	v_fmac_f32_e32 v47, v95, v46
	v_add_f32_e32 v46, v96, v13
	v_add_f32_e32 v49, v6, v16
	v_sub_f32_e32 v6, v6, v16
	v_add_f32_e32 v16, v5, v11
	v_add_f32_e32 v52, v8, v14
	v_sub_f32_e32 v5, v5, v11
	v_sub_f32_e32 v8, v8, v14
	v_add_f32_e32 v11, v7, v9
	v_add_f32_e32 v14, v10, v12
	v_sub_f32_e32 v7, v9, v7
	v_sub_f32_e32 v9, v12, v10
	v_add_f32_e32 v10, v16, v46
	v_sub_f32_e32 v13, v96, v13
	v_add_f32_e32 v12, v52, v49
	v_add_f32_e32 v55, v7, v5
	;; [unrolled: 1-line block ×3, first 2 shown]
	v_sub_f32_e32 v53, v16, v46
	v_sub_f32_e32 v46, v46, v11
	;; [unrolled: 1-line block ×6, first 2 shown]
	v_add_f32_e32 v11, v14, v12
	v_add_f32_e32 v12, v55, v13
	;; [unrolled: 1-line block ×3, first 2 shown]
	v_sub_f32_e32 v54, v52, v49
	v_sub_f32_e32 v49, v49, v14
	;; [unrolled: 1-line block ×3, first 2 shown]
	v_add_f32_e32 v56, v9, v8
	v_sub_f32_e32 v58, v9, v8
	v_add_f32_e32 v50, v50, v11
	v_mov_b32_e32 v59, v13
	v_sub_f32_e32 v9, v6, v9
	v_sub_f32_e32 v8, v8, v6
	v_add_f32_e32 v6, v56, v6
	v_mul_f32_e32 v14, 0x3f4a47b2, v46
	v_mul_f32_e32 v25, 0x3f4a47b2, v49
	;; [unrolled: 1-line block ×7, first 2 shown]
	v_fmac_f32_e32 v59, 0xbf955555, v10
	v_mov_b32_e32 v10, v50
	v_mul_f32_e32 v58, 0x3f5ff5aa, v8
	v_fmac_f32_e32 v10, 0xbf955555, v11
	v_fma_f32 v11, v53, s5, -v46
	v_fma_f32 v46, v54, s5, -v49
	;; [unrolled: 1-line block ×3, first 2 shown]
	v_fmac_f32_e32 v14, 0x3d64c772, v16
	v_fma_f32 v16, v54, s6, -v25
	v_fmac_f32_e32 v25, 0x3d64c772, v52
	v_fma_f32 v5, v5, s4, -v55
	;; [unrolled: 2-line block ×3, first 2 shown]
	v_fma_f32 v7, v7, s7, -v57
	v_fmac_f32_e32 v56, 0x3eae86e6, v9
	v_fma_f32 v9, v9, s7, -v58
	v_add_f32_e32 v25, v25, v10
	v_add_f32_e32 v11, v11, v59
	;; [unrolled: 1-line block ×4, first 2 shown]
	v_fmac_f32_e32 v55, 0x3ee1c552, v12
	v_fmac_f32_e32 v5, 0x3ee1c552, v12
	;; [unrolled: 1-line block ×4, first 2 shown]
	v_add_f32_e32 v14, v14, v59
	v_add_f32_e32 v49, v49, v59
	v_fmac_f32_e32 v56, 0x3ee1c552, v6
	v_fmac_f32_e32 v9, 0x3ee1c552, v6
	v_sub_f32_e32 v12, v25, v55
	v_sub_f32_e32 v52, v10, v7
	v_sub_f32_e32 v53, v11, v8
	v_add_f32_e32 v54, v5, v46
	v_add_f32_e32 v8, v8, v11
	v_sub_f32_e32 v11, v46, v5
	v_add_f32_e32 v7, v7, v10
	v_add_f32_e32 v46, v55, v25
	;; [unrolled: 1-line block ×6, first 2 shown]
	v_sub_f32_e32 v5, v49, v9
	v_sub_f32_e32 v9, v14, v56
	v_add_f32_e32 v14, v18, v35
	v_sub_f32_e32 v15, v15, v32
	v_add_f32_e32 v32, v20, v33
	v_sub_f32_e32 v17, v17, v23
	v_sub_f32_e32 v20, v20, v33
	v_add_f32_e32 v23, v19, v21
	v_add_f32_e32 v33, v22, v24
	v_sub_f32_e32 v19, v21, v19
	v_sub_f32_e32 v21, v24, v22
	v_add_f32_e32 v22, v25, v10
	v_add_f32_e32 v24, v32, v14
	;; [unrolled: 1-line block ×3, first 2 shown]
	v_sub_f32_e32 v18, v18, v35
	v_sub_f32_e32 v35, v25, v10
	;; [unrolled: 1-line block ×4, first 2 shown]
	v_add_f32_e32 v23, v33, v24
	v_add_f32_e32 v24, v26, v22
	v_sub_f32_e32 v49, v32, v14
	v_sub_f32_e32 v14, v14, v33
	;; [unrolled: 1-line block ×3, first 2 shown]
	v_add_f32_e32 v55, v19, v17
	v_add_f32_e32 v56, v21, v20
	v_sub_f32_e32 v57, v19, v17
	v_sub_f32_e32 v58, v21, v20
	;; [unrolled: 1-line block ×4, first 2 shown]
	v_add_f32_e32 v33, v51, v23
	v_mov_b32_e32 v59, v24
	v_sub_f32_e32 v19, v15, v19
	v_sub_f32_e32 v21, v18, v21
	v_add_f32_e32 v15, v55, v15
	v_add_f32_e32 v18, v56, v18
	v_mul_f32_e32 v10, 0x3f4a47b2, v10
	v_mul_f32_e32 v14, 0x3f4a47b2, v14
	;; [unrolled: 1-line block ×8, first 2 shown]
	v_fmac_f32_e32 v59, 0xbf955555, v22
	v_mov_b32_e32 v22, v33
	v_fmac_f32_e32 v22, 0xbf955555, v23
	v_fma_f32 v23, v35, s5, -v26
	v_fma_f32 v26, v49, s5, -v51
	;; [unrolled: 1-line block ×3, first 2 shown]
	v_fmac_f32_e32 v10, 0x3d64c772, v25
	v_fma_f32 v25, v49, s6, -v14
	v_fmac_f32_e32 v14, 0x3d64c772, v32
	v_fma_f32 v17, v17, s4, -v55
	;; [unrolled: 2-line block ×4, first 2 shown]
	v_fma_f32 v21, v21, s7, -v58
	v_add_f32_e32 v14, v14, v22
	v_add_f32_e32 v23, v23, v59
	;; [unrolled: 1-line block ×5, first 2 shown]
	v_fmac_f32_e32 v55, 0x3ee1c552, v15
	v_fmac_f32_e32 v20, 0x3ee1c552, v18
	;; [unrolled: 1-line block ×6, first 2 shown]
	v_sub_f32_e32 v18, v14, v55
	v_add_f32_e32 v25, v21, v32
	v_sub_f32_e32 v49, v22, v19
	v_sub_f32_e32 v35, v23, v20
	v_add_f32_e32 v20, v20, v23
	v_sub_f32_e32 v21, v32, v21
	v_add_f32_e32 v23, v19, v22
	v_add_f32_e32 v32, v55, v14
	;; [unrolled: 1-line block ×3, first 2 shown]
	v_sub_f32_e32 v22, v34, v44
	v_add_f32_e32 v34, v36, v42
	v_add_f32_e32 v51, v17, v26
	v_sub_f32_e32 v17, v26, v17
	v_add_f32_e32 v19, v37, v47
	v_sub_f32_e32 v26, v37, v47
	;; [unrolled: 2-line block ×3, first 2 shown]
	v_add_f32_e32 v42, v38, v40
	v_add_f32_e32 v44, v41, v43
	v_sub_f32_e32 v38, v40, v38
	v_sub_f32_e32 v40, v43, v41
	v_add_f32_e32 v41, v34, v14
	v_add_f32_e32 v43, v37, v19
	;; [unrolled: 1-line block ×4, first 2 shown]
	v_sub_f32_e32 v39, v39, v45
	v_sub_f32_e32 v45, v34, v14
	;; [unrolled: 1-line block ×4, first 2 shown]
	v_add_f32_e32 v42, v44, v43
	v_add_f32_e32 v43, v48, v41
	;; [unrolled: 1-line block ×3, first 2 shown]
	v_sub_f32_e32 v10, v10, v56
	v_sub_f32_e32 v47, v37, v19
	;; [unrolled: 1-line block ×4, first 2 shown]
	v_add_f32_e32 v55, v38, v36
	v_add_f32_e32 v56, v40, v39
	v_sub_f32_e32 v57, v38, v36
	v_sub_f32_e32 v58, v40, v39
	;; [unrolled: 1-line block ×3, first 2 shown]
	v_add_f32_e32 v44, v70, v42
	v_mov_b32_e32 v60, v43
	v_sub_f32_e32 v38, v22, v38
	v_sub_f32_e32 v40, v26, v40
	;; [unrolled: 1-line block ×3, first 2 shown]
	v_add_f32_e32 v22, v55, v22
	v_add_f32_e32 v26, v56, v26
	v_mul_f32_e32 v14, 0x3f4a47b2, v14
	v_mul_f32_e32 v19, 0x3f4a47b2, v19
	;; [unrolled: 1-line block ×7, first 2 shown]
	v_fmac_f32_e32 v60, 0xbf955555, v41
	v_mov_b32_e32 v41, v44
	v_mul_f32_e32 v59, 0x3f5ff5aa, v39
	v_fmac_f32_e32 v41, 0xbf955555, v42
	v_fma_f32 v42, v45, s5, -v48
	v_fma_f32 v48, v47, s5, -v55
	;; [unrolled: 1-line block ×3, first 2 shown]
	v_fmac_f32_e32 v14, 0x3d64c772, v34
	v_fma_f32 v34, v47, s6, -v19
	v_fmac_f32_e32 v19, 0x3d64c772, v37
	v_fma_f32 v36, v36, s4, -v56
	;; [unrolled: 2-line block ×3, first 2 shown]
	v_fma_f32 v38, v38, s7, -v58
	v_fmac_f32_e32 v57, 0x3eae86e6, v40
	v_fma_f32 v39, v40, s7, -v59
	v_add_f32_e32 v40, v42, v60
	v_add_f32_e32 v42, v48, v41
	;; [unrolled: 1-line block ×3, first 2 shown]
	v_fmac_f32_e32 v36, 0x3ee1c552, v22
	v_fmac_f32_e32 v37, 0x3ee1c552, v26
	;; [unrolled: 1-line block ×3, first 2 shown]
	v_add_f32_e32 v19, v19, v41
	v_add_f32_e32 v45, v45, v60
	v_fmac_f32_e32 v56, 0x3ee1c552, v22
	v_fmac_f32_e32 v39, 0x3ee1c552, v26
	v_sub_f32_e32 v47, v34, v38
	v_sub_f32_e32 v48, v40, v37
	v_add_f32_e32 v55, v36, v42
	v_add_f32_e32 v37, v37, v40
	v_sub_f32_e32 v40, v42, v36
	v_add_f32_e32 v42, v38, v34
	v_mov_b32_e32 v34, 2
	v_fmac_f32_e32 v57, 0x3ee1c552, v26
	v_sub_f32_e32 v41, v19, v56
	v_add_f32_e32 v26, v39, v45
	v_sub_f32_e32 v36, v45, v39
	v_add_f32_e32 v45, v56, v19
	v_mul_u32_u24_e32 v19, 0x2a0, v89
	v_lshlrev_b32_sdwa v38, v34, v90 dst_sel:DWORD dst_unused:UNUSED_PAD src0_sel:DWORD src1_sel:BYTE_0
	v_add3_u32 v56, 0, v19, v38
	ds_write2_b32 v56, v13, v6 offset1:24
	ds_write2_b32 v56, v16, v53 offset0:48 offset1:72
	ds_write2_b32 v56, v8, v5 offset0:96 offset1:120
	ds_write_b32 v56, v9 offset:576
	v_mul_u32_u24_e32 v5, 0x2a0, v91
	v_lshlrev_b32_sdwa v6, v34, v92 dst_sel:DWORD dst_unused:UNUSED_PAD src0_sel:DWORD src1_sel:BYTE_0
	v_add_f32_e32 v14, v14, v60
	v_add3_u32 v6, 0, v5, v6
	v_mul_u32_u24_e32 v5, 0x2a0, v93
	v_lshlrev_b32_sdwa v8, v34, v94 dst_sel:DWORD dst_unused:UNUSED_PAD src0_sel:DWORD src1_sel:BYTE_0
	v_add_f32_e32 v22, v57, v14
	v_sub_f32_e32 v14, v14, v57
	v_add3_u32 v8, 0, v5, v8
	ds_write2_b32 v6, v24, v15 offset1:24
	ds_write2_b32 v6, v25, v35 offset0:48 offset1:72
	ds_write2_b32 v6, v20, v21 offset0:96 offset1:120
	ds_write_b32 v6, v10 offset:576
	ds_write2_b32 v8, v43, v22 offset1:24
	ds_write2_b32 v8, v26, v48 offset0:48 offset1:72
	ds_write2_b32 v8, v37, v36 offset0:96 offset1:120
	ds_write_b32 v8, v14 offset:576
	s_waitcnt lgkmcnt(0)
	; wave barrier
	s_waitcnt lgkmcnt(0)
	ds_read2_b32 v[9:10], v0 offset1:56
	ds_read2_b32 v[24:25], v0 offset0:112 offset1:168
	ds_read2_b32 v[13:14], v27 offset0:80 offset1:136
	;; [unrolled: 1-line block ×9, first 2 shown]
	ds_read_b32 v5, v0 offset:4480
	s_waitcnt lgkmcnt(0)
	; wave barrier
	s_waitcnt lgkmcnt(0)
	ds_write2_b32 v56, v50, v12 offset1:24
	ds_write2_b32 v56, v52, v54 offset0:48 offset1:72
	ds_write2_b32 v56, v11, v7 offset0:96 offset1:120
	ds_write_b32 v56, v46 offset:576
	ds_write2_b32 v6, v33, v18 offset1:24
	ds_write2_b32 v6, v49, v51 offset0:48 offset1:72
	ds_write2_b32 v6, v17, v23 offset0:96 offset1:120
	ds_write_b32 v6, v32 offset:576
	;; [unrolled: 4-line block ×3, first 2 shown]
	s_waitcnt lgkmcnt(0)
	; wave barrier
	s_waitcnt lgkmcnt(0)
	s_and_saveexec_b64 s[8:9], s[0:1]
	s_cbranch_execz .LBB0_37
; %bb.36:
	v_mul_u32_u24_e32 v6, 6, v69
	v_lshlrev_b32_e32 v6, 3, v6
	global_load_dwordx4 v[28:31], v6, s[12:13] offset:1328
	global_load_dwordx4 v[40:43], v6, s[12:13] offset:1360
	;; [unrolled: 1-line block ×3, first 2 shown]
	v_mul_lo_u32 v6, s3, v3
	v_mad_u64_u32 v[7:8], s[0:1], s2, v3, 0
	v_add_u32_e32 v3, 0x200, v0
	v_mov_b32_e32 v12, 0xfffffeb0
	v_mul_lo_u32 v17, s2, v4
	ds_read_b32 v18, v0 offset:4480
	v_add_u32_e32 v11, 0xc00, v0
	v_add_u32_e32 v74, 0x800, v0
	;; [unrolled: 1-line block ×3, first 2 shown]
	ds_read2_b32 v[60:61], v0 offset0:112 offset1:168
	v_mov_b32_e32 v4, 0
	ds_read2_b32 v[62:63], v3 offset0:96 offset1:152
	ds_read2_b32 v[64:65], v11 offset0:16 offset1:72
	;; [unrolled: 1-line block ×5, first 2 shown]
	v_mad_u32_u24 v3, v69, 6, v12
	v_lshlrev_b64 v[11:12], 3, v[3:4]
	v_mov_b32_e32 v23, s13
	v_add_co_u32_e32 v11, vcc, s12, v11
	v_addc_co_u32_e32 v12, vcc, v23, v12, vcc
	global_load_dwordx4 v[48:51], v[11:12], off offset:1328
	global_load_dwordx4 v[52:55], v[11:12], off offset:1360
	;; [unrolled: 1-line block ×3, first 2 shown]
	v_add3_u32 v8, v8, v17, v6
	s_mov_b32 s2, 0x18618619
	s_movk_i32 s3, 0xa8
	v_lshlrev_b64 v[7:8], 3, v[7:8]
	s_movk_i32 s0, 0x1000
	v_add_co_u32_e32 v7, vcc, s10, v7
	s_waitcnt vmcnt(5) lgkmcnt(4)
	v_mul_f32_e32 v3, v29, v63
	s_waitcnt vmcnt(4)
	v_mul_f32_e32 v6, v43, v18
	s_waitcnt vmcnt(3) lgkmcnt(3)
	v_mul_f32_e32 v11, v47, v64
	s_waitcnt lgkmcnt(2)
	v_mul_f32_e32 v12, v45, v67
	s_waitcnt lgkmcnt(1)
	;; [unrolled: 2-line block ×3, first 2 shown]
	v_mul_f32_e32 v23, v41, v73
	v_mul_f32_e32 v32, v42, v18
	;; [unrolled: 1-line block ×7, first 2 shown]
	v_fma_f32 v3, v39, v28, -v3
	v_fma_f32 v6, v5, v42, -v6
	;; [unrolled: 1-line block ×6, first 2 shown]
	v_fmac_f32_e32 v32, v5, v43
	v_fmac_f32_e32 v33, v39, v29
	;; [unrolled: 1-line block ×6, first 2 shown]
	v_sub_f32_e32 v15, v3, v6
	v_sub_f32_e32 v5, v11, v12
	;; [unrolled: 1-line block ×3, first 2 shown]
	v_add_f32_e32 v23, v33, v32
	v_add_f32_e32 v29, v69, v67
	;; [unrolled: 1-line block ×5, first 2 shown]
	v_sub_f32_e32 v12, v15, v5
	v_sub_f32_e32 v6, v5, v21
	v_add_f32_e32 v5, v5, v21
	v_add_f32_e32 v31, v23, v29
	v_add_f32_e32 v30, v17, v18
	v_sub_f32_e32 v18, v28, v29
	v_add_f32_e32 v40, v15, v5
	v_add_f32_e32 v5, v28, v31
	v_mul_f32_e32 v42, 0x3d64c772, v18
	v_add_f32_e32 v18, v60, v5
	v_mov_b32_e32 v44, v18
	v_sub_f32_e32 v37, v11, v30
	v_fmac_f32_e32 v44, 0xbf955555, v5
	v_add_f32_e32 v5, v3, v30
	v_sub_f32_e32 v17, v23, v28
	v_mul_f32_e32 v39, 0xbf08b237, v6
	v_mul_f32_e32 v31, 0x3d64c772, v37
	v_mov_b32_e32 v6, v42
	v_add_f32_e32 v5, v11, v5
	v_sub_f32_e32 v35, v3, v11
	v_mul_f32_e32 v41, 0x3f4a47b2, v17
	v_mov_b32_e32 v43, v31
	v_fmac_f32_e32 v6, 0x3f4a47b2, v17
	v_add_f32_e32 v17, v24, v5
	v_mul_f32_e32 v28, 0x3f4a47b2, v35
	v_fmac_f32_e32 v43, 0x3f4a47b2, v35
	v_mov_b32_e32 v35, v17
	v_fmac_f32_e32 v35, 0xbf955555, v5
	v_sub_f32_e32 v11, v33, v32
	v_sub_f32_e32 v5, v64, v63
	;; [unrolled: 1-line block ×5, first 2 shown]
	v_fma_f32 v28, v3, s6, -v28
	v_sub_f32_e32 v24, v11, v5
	v_mul_f32_e32 v33, 0xbf08b237, v33
	v_add_f32_e32 v5, v5, v32
	v_sub_f32_e32 v15, v21, v15
	v_add_f32_e32 v30, v28, v35
	v_sub_f32_e32 v28, v32, v11
	v_mov_b32_e32 v37, v39
	v_add_f32_e32 v47, v11, v5
	v_mul_f32_e32 v21, 0x3f5ff5aa, v15
	v_sub_f32_e32 v23, v29, v23
	v_mul_f32_e32 v11, 0x3f5ff5aa, v28
	v_fma_f32 v28, v28, s4, -v33
	v_fma_f32 v3, v3, s5, -v31
	v_fmac_f32_e32 v37, 0x3eae86e6, v12
	v_fma_f32 v21, v12, s7, -v21
	v_fma_f32 v12, v23, s6, -v41
	;; [unrolled: 1-line block ×3, first 2 shown]
	v_fmac_f32_e32 v28, 0x3ee1c552, v47
	v_add_f32_e32 v3, v3, v35
	v_add_f32_e32 v29, v23, v44
	;; [unrolled: 1-line block ×3, first 2 shown]
	v_sub_f32_e32 v28, v3, v28
	v_add_u32_e32 v3, 0xe00, v0
	ds_read2_b32 v[63:64], v3 offset0:112 offset1:168
	ds_read2_b32 v[69:70], v74 offset0:160 offset1:216
	;; [unrolled: 1-line block ×3, first 2 shown]
	v_fma_f32 v15, v15, s4, -v39
	v_mov_b32_e32 v46, v33
	v_fmac_f32_e32 v15, 0x3ee1c552, v40
	v_fmac_f32_e32 v46, 0x3eae86e6, v24
	;; [unrolled: 1-line block ×3, first 2 shown]
	v_add_f32_e32 v41, v12, v44
	v_fma_f32 v32, v24, s7, -v11
	v_sub_f32_e32 v24, v29, v15
	v_add_f32_e32 v29, v15, v29
	s_waitcnt vmcnt(1) lgkmcnt(2)
	v_mul_f32_e32 v15, v55, v64
	v_fmac_f32_e32 v46, 0x3ee1c552, v47
	v_add_f32_e32 v12, v21, v41
	v_fmac_f32_e32 v32, 0x3ee1c552, v47
	v_sub_f32_e32 v31, v41, v21
	v_fma_f32 v47, v27, v54, -v15
	s_waitcnt vmcnt(0) lgkmcnt(1)
	v_mul_f32_e32 v15, v59, v70
	s_waitcnt lgkmcnt(0)
	v_mul_f32_e32 v21, v51, v74
	v_mul_f32_e32 v3, v49, v62
	v_fma_f32 v67, v20, v58, -v15
	v_mul_f32_e32 v15, v57, v66
	v_fma_f32 v77, v14, v50, -v21
	;; [unrolled: 2-line block ×3, first 2 shown]
	v_fma_f32 v75, v36, v56, -v15
	v_fma_f32 v78, v34, v52, -v21
	v_sub_f32_e32 v60, v3, v47
	v_sub_f32_e32 v15, v67, v75
	;; [unrolled: 1-line block ×5, first 2 shown]
	v_add_f32_e32 v15, v15, v79
	v_add_f32_e32 v82, v60, v15
	v_mul_f32_e32 v54, v54, v64
	v_mul_u32_u24_e32 v15, 6, v68
	v_fmac_f32_e32 v37, 0x3ee1c552, v40
	v_add_f32_e32 v45, v6, v44
	v_add_f32_e32 v43, v43, v35
	v_fmac_f32_e32 v54, v27, v55
	v_mul_f32_e32 v27, v48, v62
	v_mul_f32_e32 v55, v56, v66
	v_lshlrev_b32_e32 v15, 3, v15
	v_add_f32_e32 v6, v37, v45
	v_sub_f32_e32 v5, v43, v46
	v_sub_f32_e32 v11, v30, v32
	v_add_f32_e32 v30, v32, v30
	v_sub_f32_e32 v33, v45, v37
	v_add_f32_e32 v32, v46, v43
	v_fmac_f32_e32 v27, v38, v49
	v_fmac_f32_e32 v55, v36, v57
	global_load_dwordx4 v[35:38], v15, s[12:13] offset:1328
	global_load_dwordx4 v[43:46], v15, s[12:13] offset:1344
	;; [unrolled: 1-line block ×3, first 2 shown]
	v_mul_f32_e32 v52, v52, v72
	v_mul_f32_e32 v56, v58, v70
	v_fmac_f32_e32 v52, v34, v53
	v_mul_f32_e32 v34, v50, v74
	v_fmac_f32_e32 v56, v20, v59
	v_fmac_f32_e32 v34, v14, v51
	v_add_f32_e32 v20, v56, v55
	v_add_f32_e32 v50, v34, v52
	v_sub_f32_e32 v14, v20, v50
	v_mul_f32_e32 v51, 0x3d64c772, v14
	ds_read2_b32 v[14:15], v0 offset1:56
	v_add_f32_e32 v49, v27, v54
	v_mul_f32_e32 v80, 0xbf08b237, v21
	v_sub_f32_e32 v21, v49, v20
	v_mov_b32_e32 v0, v51
	v_mul_f32_e32 v57, 0x3f4a47b2, v21
	v_fmac_f32_e32 v0, 0x3f4a47b2, v21
	v_add_f32_e32 v21, v49, v50
	v_add_f32_e32 v20, v20, v21
	s_waitcnt lgkmcnt(0)
	v_add_f32_e32 v21, v15, v20
	v_mov_b32_e32 v15, v21
	v_fmac_f32_e32 v15, 0xbf955555, v20
	v_add_f32_e32 v20, v67, v75
	v_add_f32_e32 v58, v77, v78
	v_sub_f32_e32 v59, v20, v58
	v_add_f32_e32 v3, v3, v47
	v_mul_f32_e32 v59, 0x3d64c772, v59
	v_sub_f32_e32 v47, v3, v20
	v_mov_b32_e32 v62, v59
	v_mul_f32_e32 v53, 0x3f4a47b2, v47
	v_fmac_f32_e32 v62, 0x3f4a47b2, v47
	v_add_f32_e32 v47, v3, v58
	v_add_f32_e32 v47, v20, v47
	;; [unrolled: 1-line block ×3, first 2 shown]
	v_mov_b32_e32 v10, v20
	v_fmac_f32_e32 v10, 0xbf955555, v47
	v_sub_f32_e32 v27, v27, v54
	v_sub_f32_e32 v47, v56, v55
	;; [unrolled: 1-line block ×5, first 2 shown]
	v_add_f32_e32 v47, v47, v34
	v_sub_f32_e32 v66, v50, v49
	v_mul_f32_e32 v55, 0xbf08b237, v52
	v_add_f32_e32 v56, v27, v47
	v_sub_f32_e32 v52, v79, v60
	v_fma_f32 v49, v66, s6, -v57
	v_sub_f32_e32 v3, v58, v3
	v_sub_f32_e32 v27, v34, v27
	v_mov_b32_e32 v81, v80
	v_mov_b32_e32 v64, v55
	v_mul_f32_e32 v60, 0x3f5ff5aa, v52
	v_add_f32_e32 v57, v49, v15
	v_fma_f32 v49, v3, s6, -v53
	v_mul_f32_e32 v34, 0x3f5ff5aa, v27
	v_fma_f32 v51, v66, s5, -v51
	v_fma_f32 v53, v52, s4, -v80
	v_fma_f32 v27, v27, s4, -v55
	v_fma_f32 v3, v3, s5, -v59
	v_fmac_f32_e32 v81, 0x3eae86e6, v76
	v_add_f32_e32 v0, v0, v15
	v_fmac_f32_e32 v64, 0x3eae86e6, v54
	v_fma_f32 v60, v76, s7, -v60
	v_fma_f32 v34, v54, s7, -v34
	v_add_f32_e32 v15, v51, v15
	v_fmac_f32_e32 v53, 0x3ee1c552, v82
	v_fmac_f32_e32 v27, 0x3ee1c552, v56
	v_add_f32_e32 v3, v3, v10
	v_fmac_f32_e32 v81, 0x3ee1c552, v82
	v_add_f32_e32 v62, v62, v10
	v_fmac_f32_e32 v64, 0x3ee1c552, v56
	v_fmac_f32_e32 v60, 0x3ee1c552, v82
	v_add_f32_e32 v58, v49, v10
	v_fmac_f32_e32 v34, 0x3ee1c552, v56
	v_sub_f32_e32 v52, v15, v53
	v_add_f32_e32 v51, v27, v3
	v_add_f32_e32 v54, v53, v15
	v_sub_f32_e32 v53, v3, v27
	s_waitcnt vmcnt(1)
	v_mul_f32_e32 v10, v46, v69
	s_waitcnt vmcnt(0)
	v_mul_f32_e32 v3, v42, v63
	v_add_f32_e32 v48, v81, v0
	v_sub_f32_e32 v47, v62, v64
	v_add_f32_e32 v50, v60, v57
	v_sub_f32_e32 v49, v58, v34
	v_sub_f32_e32 v56, v57, v60
	v_add_f32_e32 v55, v34, v58
	v_sub_f32_e32 v58, v0, v81
	v_add_f32_e32 v57, v64, v62
	v_mul_f32_e32 v0, v36, v61
	v_fma_f32 v3, v26, v41, -v3
	v_fma_f32 v27, v19, v45, -v10
	v_mul_f32_e32 v10, v44, v71
	v_mul_f32_e32 v60, v38, v73
	;; [unrolled: 1-line block ×4, first 2 shown]
	v_fma_f32 v0, v25, v35, -v0
	v_fma_f32 v34, v22, v43, -v10
	;; [unrolled: 1-line block ×4, first 2 shown]
	v_fmac_f32_e32 v41, v26, v42
	v_mul_f32_e32 v26, v35, v61
	v_mul_f32_e32 v35, v43, v71
	;; [unrolled: 1-line block ×3, first 2 shown]
	v_sub_f32_e32 v15, v0, v3
	v_sub_f32_e32 v10, v27, v34
	;; [unrolled: 1-line block ×3, first 2 shown]
	v_fmac_f32_e32 v35, v22, v44
	v_mul_f32_e32 v22, v45, v69
	v_fmac_f32_e32 v39, v16, v40
	v_mul_f32_e32 v16, v37, v73
	v_sub_f32_e32 v59, v15, v10
	v_sub_f32_e32 v66, v10, v64
	v_add_f32_e32 v10, v10, v64
	v_fmac_f32_e32 v22, v19, v46
	v_fmac_f32_e32 v16, v13, v38
	v_add_f32_e32 v70, v15, v10
	v_add_f32_e32 v10, v22, v35
	;; [unrolled: 1-line block ×3, first 2 shown]
	v_fmac_f32_e32 v26, v25, v36
	v_sub_f32_e32 v13, v10, v37
	v_add_f32_e32 v25, v26, v41
	v_mul_f32_e32 v38, 0x3d64c772, v13
	v_sub_f32_e32 v19, v25, v10
	v_mov_b32_e32 v13, v38
	v_mul_f32_e32 v36, 0x3f4a47b2, v19
	v_fmac_f32_e32 v13, 0x3f4a47b2, v19
	v_add_f32_e32 v19, v25, v37
	v_add_f32_e32 v19, v10, v19
	;; [unrolled: 1-line block ×6, first 2 shown]
	v_mov_b32_e32 v40, v10
	v_sub_f32_e32 v42, v3, v34
	v_fmac_f32_e32 v40, 0xbf955555, v19
	v_mul_f32_e32 v42, 0x3d64c772, v42
	v_add_f32_e32 v19, v13, v40
	v_sub_f32_e32 v13, v0, v3
	v_mov_b32_e32 v43, v42
	v_mul_f32_e32 v27, 0x3f4a47b2, v13
	v_fmac_f32_e32 v43, 0x3f4a47b2, v13
	v_add_f32_e32 v13, v0, v34
	v_sub_f32_e32 v45, v64, v15
	v_add_f32_e32 v3, v3, v13
	v_mul_f32_e32 v15, 0x3f5ff5aa, v45
	v_sub_f32_e32 v25, v37, v25
	v_add_f32_e32 v9, v9, v3
	v_sub_f32_e32 v13, v22, v35
	v_sub_f32_e32 v35, v16, v39
	v_fma_f32 v46, v59, s7, -v15
	v_fma_f32 v15, v25, s6, -v36
	;; [unrolled: 1-line block ×3, first 2 shown]
	v_lshrrev_b32_e32 v38, 3, v68
	v_mov_b32_e32 v44, v9
	v_sub_f32_e32 v26, v26, v41
	v_sub_f32_e32 v16, v13, v35
	;; [unrolled: 1-line block ×3, first 2 shown]
	v_mul_hi_u32 v38, v38, s2
	v_fmac_f32_e32 v44, 0xbf955555, v3
	v_sub_f32_e32 v22, v26, v13
	v_mul_f32_e32 v39, 0xbf08b237, v16
	v_add_f32_e32 v13, v13, v35
	v_add_f32_e32 v36, v15, v40
	v_fma_f32 v15, v0, s6, -v27
	v_sub_f32_e32 v34, v35, v26
	v_add_f32_e32 v3, v43, v44
	v_add_f32_e32 v43, v26, v13
	;; [unrolled: 1-line block ×3, first 2 shown]
	v_mul_f32_e32 v15, 0x3f5ff5aa, v34
	v_fma_f32 v34, v34, s4, -v39
	v_fma_f32 v0, v0, s5, -v42
	v_fmac_f32_e32 v34, 0x3ee1c552, v43
	v_add_f32_e32 v0, v0, v44
	v_add_f32_e32 v35, v25, v40
	v_add_f32_e32 v25, v34, v0
	v_sub_f32_e32 v34, v0, v34
	v_lshrrev_b32_e32 v0, 1, v38
	v_mul_lo_u32 v0, v0, s3
	v_mov_b32_e32 v41, v39
	v_fmac_f32_e32 v41, 0x3eae86e6, v22
	v_fmac_f32_e32 v41, 0x3ee1c552, v43
	v_sub_f32_e32 v13, v3, v41
	v_add_f32_e32 v38, v41, v3
	v_sub_u32_e32 v3, v68, v0
	v_mov_b32_e32 v0, s11
	v_addc_co_u32_e32 v8, vcc, v0, v8, vcc
	v_lshlrev_b64 v[0:1], 3, v[1:2]
	v_add_u32_e32 v2, 56, v68
	v_add_co_u32_e32 v7, vcc, v7, v0
	v_lshlrev_b32_e32 v0, 3, v3
	v_lshrrev_b32_e32 v3, 3, v2
	v_mul_hi_u32 v3, v3, s2
	v_mul_f32_e32 v66, 0xbf08b237, v66
	v_mov_b32_e32 v67, v66
	v_addc_co_u32_e32 v8, vcc, v8, v1, vcc
	v_fmac_f32_e32 v67, 0x3eae86e6, v59
	v_add_co_u32_e32 v0, vcc, v7, v0
	v_fmac_f32_e32 v67, 0x3ee1c552, v70
	v_addc_co_u32_e32 v1, vcc, 0, v8, vcc
	v_lshrrev_b32_e32 v3, 1, v3
	v_sub_f32_e32 v39, v19, v67
	global_store_dwordx2 v[0:1], v[9:10], off
	global_store_dwordx2 v[0:1], v[38:39], off offset:1344
	v_mul_lo_u32 v9, v3, s3
	v_fma_f32 v22, v22, s7, -v15
	v_fma_f32 v37, v45, s4, -v66
	v_fmac_f32_e32 v46, 0x3ee1c552, v70
	v_fmac_f32_e32 v22, 0x3ee1c552, v43
	;; [unrolled: 1-line block ×3, first 2 shown]
	v_add_f32_e32 v16, v46, v36
	v_sub_f32_e32 v26, v35, v37
	v_add_f32_e32 v35, v37, v35
	v_sub_f32_e32 v37, v36, v46
	v_add_f32_e32 v36, v22, v27
	v_sub_u32_e32 v2, v2, v9
	s_movk_i32 s4, 0x498
	global_store_dwordx2 v[0:1], v[36:37], off offset:2688
	global_store_dwordx2 v[0:1], v[34:35], off offset:4032
	v_add_co_u32_e32 v0, vcc, s0, v0
	v_mad_u64_u32 v[2:3], s[0:1], v3, s4, v[2:3]
	v_sub_f32_e32 v15, v27, v22
	v_addc_co_u32_e32 v1, vcc, 0, v1, vcc
	v_mov_b32_e32 v3, v4
	v_add_f32_e32 v14, v67, v19
	global_store_dwordx2 v[0:1], v[25:26], off offset:1280
	global_store_dwordx2 v[0:1], v[15:16], off offset:2624
	;; [unrolled: 1-line block ×3, first 2 shown]
	v_lshlrev_b64 v[0:1], 3, v[2:3]
	v_add_u32_e32 v3, 0xa8, v2
	v_add_co_u32_e32 v0, vcc, v7, v0
	v_addc_co_u32_e32 v1, vcc, v8, v1, vcc
	global_store_dwordx2 v[0:1], v[20:21], off
	v_lshlrev_b64 v[0:1], 3, v[3:4]
	v_add_u32_e32 v3, 0x150, v2
	v_add_co_u32_e32 v0, vcc, v7, v0
	v_addc_co_u32_e32 v1, vcc, v8, v1, vcc
	global_store_dwordx2 v[0:1], v[57:58], off
	;; [unrolled: 5-line block ×4, first 2 shown]
	v_lshlrev_b64 v[0:1], 3, v[3:4]
	v_add_u32_e32 v3, 0x348, v2
	v_add_co_u32_e32 v0, vcc, v7, v0
	v_addc_co_u32_e32 v1, vcc, v8, v1, vcc
	v_add_u32_e32 v9, 0x70, v68
	global_store_dwordx2 v[0:1], v[51:52], off
	v_lshlrev_b64 v[0:1], 3, v[3:4]
	v_lshrrev_b32_e32 v3, 3, v9
	v_mul_hi_u32 v3, v3, s2
	v_add_co_u32_e32 v0, vcc, v7, v0
	v_addc_co_u32_e32 v1, vcc, v8, v1, vcc
	v_lshrrev_b32_e32 v10, 1, v3
	v_mul_lo_u32 v13, v10, s3
	v_add_u32_e32 v3, 0x3f0, v2
	global_store_dwordx2 v[0:1], v[49:50], off
	v_lshlrev_b64 v[0:1], 3, v[3:4]
	v_sub_u32_e32 v2, v9, v13
	v_mad_u64_u32 v[2:3], s[0:1], v10, s4, v[2:3]
	v_add_co_u32_e32 v0, vcc, v7, v0
	v_addc_co_u32_e32 v1, vcc, v8, v1, vcc
	v_mov_b32_e32 v3, v4
	global_store_dwordx2 v[0:1], v[47:48], off
	v_lshlrev_b64 v[0:1], 3, v[2:3]
	v_add_u32_e32 v3, 0xa8, v2
	v_add_co_u32_e32 v0, vcc, v7, v0
	v_addc_co_u32_e32 v1, vcc, v8, v1, vcc
	global_store_dwordx2 v[0:1], v[17:18], off
	v_lshlrev_b64 v[0:1], 3, v[3:4]
	v_add_u32_e32 v3, 0x150, v2
	v_add_co_u32_e32 v0, vcc, v7, v0
	v_addc_co_u32_e32 v1, vcc, v8, v1, vcc
	global_store_dwordx2 v[0:1], v[32:33], off
	v_lshlrev_b64 v[0:1], 3, v[3:4]
	v_add_u32_e32 v3, 0x1f8, v2
	v_add_co_u32_e32 v0, vcc, v7, v0
	v_addc_co_u32_e32 v1, vcc, v8, v1, vcc
	global_store_dwordx2 v[0:1], v[30:31], off
	v_lshlrev_b64 v[0:1], 3, v[3:4]
	v_add_u32_e32 v3, 0x2a0, v2
	v_add_co_u32_e32 v0, vcc, v7, v0
	v_addc_co_u32_e32 v1, vcc, v8, v1, vcc
	global_store_dwordx2 v[0:1], v[28:29], off
	v_lshlrev_b64 v[0:1], 3, v[3:4]
	v_add_u32_e32 v3, 0x348, v2
	v_add_co_u32_e32 v0, vcc, v7, v0
	v_addc_co_u32_e32 v1, vcc, v8, v1, vcc
	global_store_dwordx2 v[0:1], v[23:24], off
	v_lshlrev_b64 v[0:1], 3, v[3:4]
	v_add_u32_e32 v3, 0x3f0, v2
	v_add_co_u32_e32 v0, vcc, v7, v0
	v_addc_co_u32_e32 v1, vcc, v8, v1, vcc
	global_store_dwordx2 v[0:1], v[11:12], off
	v_lshlrev_b64 v[0:1], 3, v[3:4]
	v_add_co_u32_e32 v0, vcc, v7, v0
	v_addc_co_u32_e32 v1, vcc, v8, v1, vcc
	global_store_dwordx2 v[0:1], v[5:6], off
.LBB0_37:
	s_endpgm
	.section	.rodata,"a",@progbits
	.p2align	6, 0x0
	.amdhsa_kernel fft_rtc_fwd_len1176_factors_2_2_2_3_7_7_wgs_56_tpt_56_halfLds_sp_op_CI_CI_unitstride_sbrr_dirReg
		.amdhsa_group_segment_fixed_size 0
		.amdhsa_private_segment_fixed_size 0
		.amdhsa_kernarg_size 104
		.amdhsa_user_sgpr_count 6
		.amdhsa_user_sgpr_private_segment_buffer 1
		.amdhsa_user_sgpr_dispatch_ptr 0
		.amdhsa_user_sgpr_queue_ptr 0
		.amdhsa_user_sgpr_kernarg_segment_ptr 1
		.amdhsa_user_sgpr_dispatch_id 0
		.amdhsa_user_sgpr_flat_scratch_init 0
		.amdhsa_user_sgpr_private_segment_size 0
		.amdhsa_uses_dynamic_stack 0
		.amdhsa_system_sgpr_private_segment_wavefront_offset 0
		.amdhsa_system_sgpr_workgroup_id_x 1
		.amdhsa_system_sgpr_workgroup_id_y 0
		.amdhsa_system_sgpr_workgroup_id_z 0
		.amdhsa_system_sgpr_workgroup_info 0
		.amdhsa_system_vgpr_workitem_id 0
		.amdhsa_next_free_vgpr 97
		.amdhsa_next_free_sgpr 28
		.amdhsa_reserve_vcc 1
		.amdhsa_reserve_flat_scratch 0
		.amdhsa_float_round_mode_32 0
		.amdhsa_float_round_mode_16_64 0
		.amdhsa_float_denorm_mode_32 3
		.amdhsa_float_denorm_mode_16_64 3
		.amdhsa_dx10_clamp 1
		.amdhsa_ieee_mode 1
		.amdhsa_fp16_overflow 0
		.amdhsa_exception_fp_ieee_invalid_op 0
		.amdhsa_exception_fp_denorm_src 0
		.amdhsa_exception_fp_ieee_div_zero 0
		.amdhsa_exception_fp_ieee_overflow 0
		.amdhsa_exception_fp_ieee_underflow 0
		.amdhsa_exception_fp_ieee_inexact 0
		.amdhsa_exception_int_div_zero 0
	.end_amdhsa_kernel
	.text
.Lfunc_end0:
	.size	fft_rtc_fwd_len1176_factors_2_2_2_3_7_7_wgs_56_tpt_56_halfLds_sp_op_CI_CI_unitstride_sbrr_dirReg, .Lfunc_end0-fft_rtc_fwd_len1176_factors_2_2_2_3_7_7_wgs_56_tpt_56_halfLds_sp_op_CI_CI_unitstride_sbrr_dirReg
                                        ; -- End function
	.section	.AMDGPU.csdata,"",@progbits
; Kernel info:
; codeLenInByte = 11644
; NumSgprs: 32
; NumVgprs: 97
; ScratchSize: 0
; MemoryBound: 0
; FloatMode: 240
; IeeeMode: 1
; LDSByteSize: 0 bytes/workgroup (compile time only)
; SGPRBlocks: 3
; VGPRBlocks: 24
; NumSGPRsForWavesPerEU: 32
; NumVGPRsForWavesPerEU: 97
; Occupancy: 2
; WaveLimiterHint : 1
; COMPUTE_PGM_RSRC2:SCRATCH_EN: 0
; COMPUTE_PGM_RSRC2:USER_SGPR: 6
; COMPUTE_PGM_RSRC2:TRAP_HANDLER: 0
; COMPUTE_PGM_RSRC2:TGID_X_EN: 1
; COMPUTE_PGM_RSRC2:TGID_Y_EN: 0
; COMPUTE_PGM_RSRC2:TGID_Z_EN: 0
; COMPUTE_PGM_RSRC2:TIDIG_COMP_CNT: 0
	.type	__hip_cuid_6303872683fbe986,@object ; @__hip_cuid_6303872683fbe986
	.section	.bss,"aw",@nobits
	.globl	__hip_cuid_6303872683fbe986
__hip_cuid_6303872683fbe986:
	.byte	0                               ; 0x0
	.size	__hip_cuid_6303872683fbe986, 1

	.ident	"AMD clang version 19.0.0git (https://github.com/RadeonOpenCompute/llvm-project roc-6.4.0 25133 c7fe45cf4b819c5991fe208aaa96edf142730f1d)"
	.section	".note.GNU-stack","",@progbits
	.addrsig
	.addrsig_sym __hip_cuid_6303872683fbe986
	.amdgpu_metadata
---
amdhsa.kernels:
  - .args:
      - .actual_access:  read_only
        .address_space:  global
        .offset:         0
        .size:           8
        .value_kind:     global_buffer
      - .offset:         8
        .size:           8
        .value_kind:     by_value
      - .actual_access:  read_only
        .address_space:  global
        .offset:         16
        .size:           8
        .value_kind:     global_buffer
      - .actual_access:  read_only
        .address_space:  global
        .offset:         24
        .size:           8
        .value_kind:     global_buffer
      - .actual_access:  read_only
        .address_space:  global
        .offset:         32
        .size:           8
        .value_kind:     global_buffer
      - .offset:         40
        .size:           8
        .value_kind:     by_value
      - .actual_access:  read_only
        .address_space:  global
        .offset:         48
        .size:           8
        .value_kind:     global_buffer
      - .actual_access:  read_only
        .address_space:  global
        .offset:         56
        .size:           8
        .value_kind:     global_buffer
      - .offset:         64
        .size:           4
        .value_kind:     by_value
      - .actual_access:  read_only
        .address_space:  global
        .offset:         72
        .size:           8
        .value_kind:     global_buffer
      - .actual_access:  read_only
        .address_space:  global
        .offset:         80
        .size:           8
        .value_kind:     global_buffer
      - .actual_access:  read_only
        .address_space:  global
        .offset:         88
        .size:           8
        .value_kind:     global_buffer
      - .actual_access:  write_only
        .address_space:  global
        .offset:         96
        .size:           8
        .value_kind:     global_buffer
    .group_segment_fixed_size: 0
    .kernarg_segment_align: 8
    .kernarg_segment_size: 104
    .language:       OpenCL C
    .language_version:
      - 2
      - 0
    .max_flat_workgroup_size: 56
    .name:           fft_rtc_fwd_len1176_factors_2_2_2_3_7_7_wgs_56_tpt_56_halfLds_sp_op_CI_CI_unitstride_sbrr_dirReg
    .private_segment_fixed_size: 0
    .sgpr_count:     32
    .sgpr_spill_count: 0
    .symbol:         fft_rtc_fwd_len1176_factors_2_2_2_3_7_7_wgs_56_tpt_56_halfLds_sp_op_CI_CI_unitstride_sbrr_dirReg.kd
    .uniform_work_group_size: 1
    .uses_dynamic_stack: false
    .vgpr_count:     97
    .vgpr_spill_count: 0
    .wavefront_size: 64
amdhsa.target:   amdgcn-amd-amdhsa--gfx906
amdhsa.version:
  - 1
  - 2
...

	.end_amdgpu_metadata
